;; amdgpu-corpus repo=ROCm/rocFFT kind=compiled arch=gfx1201 opt=O3
	.text
	.amdgcn_target "amdgcn-amd-amdhsa--gfx1201"
	.amdhsa_code_object_version 6
	.protected	fft_rtc_fwd_len2880_factors_10_6_6_2_2_2_wgs_96_tpt_96_halfLds_half_ip_CI_unitstride_sbrr_C2R_dirReg ; -- Begin function fft_rtc_fwd_len2880_factors_10_6_6_2_2_2_wgs_96_tpt_96_halfLds_half_ip_CI_unitstride_sbrr_C2R_dirReg
	.globl	fft_rtc_fwd_len2880_factors_10_6_6_2_2_2_wgs_96_tpt_96_halfLds_half_ip_CI_unitstride_sbrr_C2R_dirReg
	.p2align	8
	.type	fft_rtc_fwd_len2880_factors_10_6_6_2_2_2_wgs_96_tpt_96_halfLds_half_ip_CI_unitstride_sbrr_C2R_dirReg,@function
fft_rtc_fwd_len2880_factors_10_6_6_2_2_2_wgs_96_tpt_96_halfLds_half_ip_CI_unitstride_sbrr_C2R_dirReg: ; @fft_rtc_fwd_len2880_factors_10_6_6_2_2_2_wgs_96_tpt_96_halfLds_half_ip_CI_unitstride_sbrr_C2R_dirReg
; %bb.0:
	s_clause 0x2
	s_load_b128 s[4:7], s[0:1], 0x0
	s_load_b64 s[8:9], s[0:1], 0x50
	s_load_b64 s[10:11], s[0:1], 0x18
	v_mul_u32_u24_e32 v1, 0x2ab, v0
	v_mov_b32_e32 v3, 0
	s_delay_alu instid0(VALU_DEP_2) | instskip(NEXT) | instid1(VALU_DEP_1)
	v_lshrrev_b32_e32 v1, 16, v1
	v_add_nc_u32_e32 v5, ttmp9, v1
	v_mov_b32_e32 v1, 0
	v_mov_b32_e32 v2, 0
	;; [unrolled: 1-line block ×3, first 2 shown]
	s_wait_kmcnt 0x0
	v_cmp_lt_u64_e64 s2, s[6:7], 2
	s_delay_alu instid0(VALU_DEP_1)
	s_and_b32 vcc_lo, exec_lo, s2
	s_cbranch_vccnz .LBB0_8
; %bb.1:
	s_load_b64 s[2:3], s[0:1], 0x10
	v_mov_b32_e32 v1, 0
	v_mov_b32_e32 v2, 0
	s_add_nc_u64 s[12:13], s[10:11], 8
	s_mov_b64 s[14:15], 1
	s_wait_kmcnt 0x0
	s_add_nc_u64 s[16:17], s[2:3], 8
	s_mov_b32 s3, 0
.LBB0_2:                                ; =>This Inner Loop Header: Depth=1
	s_load_b64 s[18:19], s[16:17], 0x0
                                        ; implicit-def: $vgpr7_vgpr8
	s_mov_b32 s2, exec_lo
	s_wait_kmcnt 0x0
	v_or_b32_e32 v4, s19, v6
	s_delay_alu instid0(VALU_DEP_1)
	v_cmpx_ne_u64_e32 0, v[3:4]
	s_wait_alu 0xfffe
	s_xor_b32 s20, exec_lo, s2
	s_cbranch_execz .LBB0_4
; %bb.3:                                ;   in Loop: Header=BB0_2 Depth=1
	s_cvt_f32_u32 s2, s18
	s_cvt_f32_u32 s21, s19
	s_sub_nc_u64 s[24:25], 0, s[18:19]
	s_wait_alu 0xfffe
	s_delay_alu instid0(SALU_CYCLE_1) | instskip(SKIP_1) | instid1(SALU_CYCLE_2)
	s_fmamk_f32 s2, s21, 0x4f800000, s2
	s_wait_alu 0xfffe
	v_s_rcp_f32 s2, s2
	s_delay_alu instid0(TRANS32_DEP_1) | instskip(SKIP_1) | instid1(SALU_CYCLE_2)
	s_mul_f32 s2, s2, 0x5f7ffffc
	s_wait_alu 0xfffe
	s_mul_f32 s21, s2, 0x2f800000
	s_wait_alu 0xfffe
	s_delay_alu instid0(SALU_CYCLE_2) | instskip(SKIP_1) | instid1(SALU_CYCLE_2)
	s_trunc_f32 s21, s21
	s_wait_alu 0xfffe
	s_fmamk_f32 s2, s21, 0xcf800000, s2
	s_cvt_u32_f32 s23, s21
	s_wait_alu 0xfffe
	s_delay_alu instid0(SALU_CYCLE_1) | instskip(SKIP_1) | instid1(SALU_CYCLE_2)
	s_cvt_u32_f32 s22, s2
	s_wait_alu 0xfffe
	s_mul_u64 s[26:27], s[24:25], s[22:23]
	s_wait_alu 0xfffe
	s_mul_hi_u32 s29, s22, s27
	s_mul_i32 s28, s22, s27
	s_mul_hi_u32 s2, s22, s26
	s_mul_i32 s30, s23, s26
	s_wait_alu 0xfffe
	s_add_nc_u64 s[28:29], s[2:3], s[28:29]
	s_mul_hi_u32 s21, s23, s26
	s_mul_hi_u32 s31, s23, s27
	s_add_co_u32 s2, s28, s30
	s_wait_alu 0xfffe
	s_add_co_ci_u32 s2, s29, s21
	s_mul_i32 s26, s23, s27
	s_add_co_ci_u32 s27, s31, 0
	s_wait_alu 0xfffe
	s_add_nc_u64 s[26:27], s[2:3], s[26:27]
	s_wait_alu 0xfffe
	v_add_co_u32 v4, s2, s22, s26
	s_delay_alu instid0(VALU_DEP_1) | instskip(SKIP_1) | instid1(VALU_DEP_1)
	s_cmp_lg_u32 s2, 0
	s_add_co_ci_u32 s23, s23, s27
	v_readfirstlane_b32 s22, v4
	s_wait_alu 0xfffe
	s_delay_alu instid0(VALU_DEP_1)
	s_mul_u64 s[24:25], s[24:25], s[22:23]
	s_wait_alu 0xfffe
	s_mul_hi_u32 s27, s22, s25
	s_mul_i32 s26, s22, s25
	s_mul_hi_u32 s2, s22, s24
	s_mul_i32 s28, s23, s24
	s_wait_alu 0xfffe
	s_add_nc_u64 s[26:27], s[2:3], s[26:27]
	s_mul_hi_u32 s21, s23, s24
	s_mul_hi_u32 s22, s23, s25
	s_wait_alu 0xfffe
	s_add_co_u32 s2, s26, s28
	s_add_co_ci_u32 s2, s27, s21
	s_mul_i32 s24, s23, s25
	s_add_co_ci_u32 s25, s22, 0
	s_wait_alu 0xfffe
	s_add_nc_u64 s[24:25], s[2:3], s[24:25]
	s_wait_alu 0xfffe
	v_add_co_u32 v4, s2, v4, s24
	s_delay_alu instid0(VALU_DEP_1) | instskip(SKIP_1) | instid1(VALU_DEP_1)
	s_cmp_lg_u32 s2, 0
	s_add_co_ci_u32 s2, s23, s25
	v_mul_hi_u32 v13, v5, v4
	s_wait_alu 0xfffe
	v_mad_co_u64_u32 v[7:8], null, v5, s2, 0
	v_mad_co_u64_u32 v[9:10], null, v6, v4, 0
	;; [unrolled: 1-line block ×3, first 2 shown]
	s_delay_alu instid0(VALU_DEP_3) | instskip(SKIP_1) | instid1(VALU_DEP_4)
	v_add_co_u32 v4, vcc_lo, v13, v7
	s_wait_alu 0xfffd
	v_add_co_ci_u32_e32 v7, vcc_lo, 0, v8, vcc_lo
	s_delay_alu instid0(VALU_DEP_2) | instskip(SKIP_1) | instid1(VALU_DEP_2)
	v_add_co_u32 v4, vcc_lo, v4, v9
	s_wait_alu 0xfffd
	v_add_co_ci_u32_e32 v4, vcc_lo, v7, v10, vcc_lo
	s_wait_alu 0xfffd
	v_add_co_ci_u32_e32 v7, vcc_lo, 0, v12, vcc_lo
	s_delay_alu instid0(VALU_DEP_2) | instskip(SKIP_1) | instid1(VALU_DEP_2)
	v_add_co_u32 v4, vcc_lo, v4, v11
	s_wait_alu 0xfffd
	v_add_co_ci_u32_e32 v9, vcc_lo, 0, v7, vcc_lo
	s_delay_alu instid0(VALU_DEP_2) | instskip(SKIP_1) | instid1(VALU_DEP_3)
	v_mul_lo_u32 v10, s19, v4
	v_mad_co_u64_u32 v[7:8], null, s18, v4, 0
	v_mul_lo_u32 v11, s18, v9
	s_delay_alu instid0(VALU_DEP_2) | instskip(NEXT) | instid1(VALU_DEP_2)
	v_sub_co_u32 v7, vcc_lo, v5, v7
	v_add3_u32 v8, v8, v11, v10
	s_delay_alu instid0(VALU_DEP_1) | instskip(SKIP_1) | instid1(VALU_DEP_1)
	v_sub_nc_u32_e32 v10, v6, v8
	s_wait_alu 0xfffd
	v_subrev_co_ci_u32_e64 v10, s2, s19, v10, vcc_lo
	v_add_co_u32 v11, s2, v4, 2
	s_wait_alu 0xf1ff
	v_add_co_ci_u32_e64 v12, s2, 0, v9, s2
	v_sub_co_u32 v13, s2, v7, s18
	v_sub_co_ci_u32_e32 v8, vcc_lo, v6, v8, vcc_lo
	s_wait_alu 0xf1ff
	v_subrev_co_ci_u32_e64 v10, s2, 0, v10, s2
	s_delay_alu instid0(VALU_DEP_3) | instskip(NEXT) | instid1(VALU_DEP_3)
	v_cmp_le_u32_e32 vcc_lo, s18, v13
	v_cmp_eq_u32_e64 s2, s19, v8
	s_wait_alu 0xfffd
	v_cndmask_b32_e64 v13, 0, -1, vcc_lo
	v_cmp_le_u32_e32 vcc_lo, s19, v10
	s_wait_alu 0xfffd
	v_cndmask_b32_e64 v14, 0, -1, vcc_lo
	v_cmp_le_u32_e32 vcc_lo, s18, v7
	;; [unrolled: 3-line block ×3, first 2 shown]
	s_wait_alu 0xfffd
	v_cndmask_b32_e64 v15, 0, -1, vcc_lo
	v_cmp_eq_u32_e32 vcc_lo, s19, v10
	s_wait_alu 0xf1ff
	s_delay_alu instid0(VALU_DEP_2)
	v_cndmask_b32_e64 v7, v15, v7, s2
	s_wait_alu 0xfffd
	v_cndmask_b32_e32 v10, v14, v13, vcc_lo
	v_add_co_u32 v13, vcc_lo, v4, 1
	s_wait_alu 0xfffd
	v_add_co_ci_u32_e32 v14, vcc_lo, 0, v9, vcc_lo
	s_delay_alu instid0(VALU_DEP_3) | instskip(SKIP_2) | instid1(VALU_DEP_3)
	v_cmp_ne_u32_e32 vcc_lo, 0, v10
	s_wait_alu 0xfffd
	v_cndmask_b32_e32 v10, v13, v11, vcc_lo
	v_cndmask_b32_e32 v8, v14, v12, vcc_lo
	v_cmp_ne_u32_e32 vcc_lo, 0, v7
	s_wait_alu 0xfffd
	s_delay_alu instid0(VALU_DEP_2)
	v_dual_cndmask_b32 v7, v4, v10 :: v_dual_cndmask_b32 v8, v9, v8
.LBB0_4:                                ;   in Loop: Header=BB0_2 Depth=1
	s_wait_alu 0xfffe
	s_and_not1_saveexec_b32 s2, s20
	s_cbranch_execz .LBB0_6
; %bb.5:                                ;   in Loop: Header=BB0_2 Depth=1
	v_cvt_f32_u32_e32 v4, s18
	s_sub_co_i32 s20, 0, s18
	s_delay_alu instid0(VALU_DEP_1) | instskip(NEXT) | instid1(TRANS32_DEP_1)
	v_rcp_iflag_f32_e32 v4, v4
	v_mul_f32_e32 v4, 0x4f7ffffe, v4
	s_delay_alu instid0(VALU_DEP_1) | instskip(SKIP_1) | instid1(VALU_DEP_1)
	v_cvt_u32_f32_e32 v4, v4
	s_wait_alu 0xfffe
	v_mul_lo_u32 v7, s20, v4
	s_delay_alu instid0(VALU_DEP_1) | instskip(NEXT) | instid1(VALU_DEP_1)
	v_mul_hi_u32 v7, v4, v7
	v_add_nc_u32_e32 v4, v4, v7
	s_delay_alu instid0(VALU_DEP_1) | instskip(NEXT) | instid1(VALU_DEP_1)
	v_mul_hi_u32 v4, v5, v4
	v_mul_lo_u32 v7, v4, s18
	v_add_nc_u32_e32 v8, 1, v4
	s_delay_alu instid0(VALU_DEP_2) | instskip(NEXT) | instid1(VALU_DEP_1)
	v_sub_nc_u32_e32 v7, v5, v7
	v_subrev_nc_u32_e32 v9, s18, v7
	v_cmp_le_u32_e32 vcc_lo, s18, v7
	s_wait_alu 0xfffd
	s_delay_alu instid0(VALU_DEP_2) | instskip(NEXT) | instid1(VALU_DEP_1)
	v_dual_cndmask_b32 v7, v7, v9 :: v_dual_cndmask_b32 v4, v4, v8
	v_cmp_le_u32_e32 vcc_lo, s18, v7
	s_delay_alu instid0(VALU_DEP_2) | instskip(SKIP_1) | instid1(VALU_DEP_1)
	v_add_nc_u32_e32 v8, 1, v4
	s_wait_alu 0xfffd
	v_dual_cndmask_b32 v7, v4, v8 :: v_dual_mov_b32 v8, v3
.LBB0_6:                                ;   in Loop: Header=BB0_2 Depth=1
	s_wait_alu 0xfffe
	s_or_b32 exec_lo, exec_lo, s2
	s_load_b64 s[20:21], s[12:13], 0x0
	s_delay_alu instid0(VALU_DEP_1)
	v_mul_lo_u32 v4, v8, s18
	v_mul_lo_u32 v11, v7, s19
	v_mad_co_u64_u32 v[9:10], null, v7, s18, 0
	s_add_nc_u64 s[14:15], s[14:15], 1
	s_add_nc_u64 s[12:13], s[12:13], 8
	s_wait_alu 0xfffe
	v_cmp_ge_u64_e64 s2, s[14:15], s[6:7]
	s_add_nc_u64 s[16:17], s[16:17], 8
	s_delay_alu instid0(VALU_DEP_2) | instskip(NEXT) | instid1(VALU_DEP_3)
	v_add3_u32 v4, v10, v11, v4
	v_sub_co_u32 v5, vcc_lo, v5, v9
	s_wait_alu 0xfffd
	s_delay_alu instid0(VALU_DEP_2) | instskip(SKIP_3) | instid1(VALU_DEP_2)
	v_sub_co_ci_u32_e32 v4, vcc_lo, v6, v4, vcc_lo
	s_and_b32 vcc_lo, exec_lo, s2
	s_wait_kmcnt 0x0
	v_mul_lo_u32 v6, s21, v5
	v_mul_lo_u32 v4, s20, v4
	v_mad_co_u64_u32 v[1:2], null, s20, v5, v[1:2]
	s_delay_alu instid0(VALU_DEP_1)
	v_add3_u32 v2, v6, v2, v4
	s_wait_alu 0xfffe
	s_cbranch_vccnz .LBB0_9
; %bb.7:                                ;   in Loop: Header=BB0_2 Depth=1
	v_dual_mov_b32 v5, v7 :: v_dual_mov_b32 v6, v8
	s_branch .LBB0_2
.LBB0_8:
	v_dual_mov_b32 v8, v6 :: v_dual_mov_b32 v7, v5
.LBB0_9:
	s_lshl_b64 s[2:3], s[6:7], 3
	v_mul_hi_u32 v4, 0x2aaaaab, v0
	s_wait_alu 0xfffe
	s_add_nc_u64 s[2:3], s[10:11], s[2:3]
	s_load_b64 s[2:3], s[2:3], 0x0
	s_load_b64 s[0:1], s[0:1], 0x20
	s_wait_kmcnt 0x0
	v_mul_lo_u32 v5, s2, v8
	v_mul_lo_u32 v6, s3, v7
	v_mad_co_u64_u32 v[2:3], null, s2, v7, v[1:2]
	v_mul_u32_u24_e32 v1, 0x60, v4
	v_cmp_gt_u64_e32 vcc_lo, s[0:1], v[7:8]
	s_delay_alu instid0(VALU_DEP_2) | instskip(NEXT) | instid1(VALU_DEP_4)
	v_sub_nc_u32_e32 v0, v0, v1
	v_add3_u32 v3, v6, v3, v5
	s_delay_alu instid0(VALU_DEP_2) | instskip(NEXT) | instid1(VALU_DEP_2)
	v_dual_mov_b32 v1, 0 :: v_dual_mov_b32 v20, v0
	v_lshlrev_b64_e32 v[22:23], 2, v[2:3]
	s_and_saveexec_b32 s1, vcc_lo
	s_cbranch_execz .LBB0_13
; %bb.10:
	s_delay_alu instid0(VALU_DEP_2) | instskip(NEXT) | instid1(VALU_DEP_2)
	v_lshlrev_b64_e32 v[4:5], 2, v[0:1]
	v_add_co_u32 v2, s0, s8, v22
	s_wait_alu 0xf1ff
	v_add_co_ci_u32_e64 v3, s0, s9, v23, s0
	v_lshl_add_u32 v38, v0, 2, 0
	s_delay_alu instid0(VALU_DEP_3) | instskip(SKIP_1) | instid1(VALU_DEP_3)
	v_add_co_u32 v4, s0, v2, v4
	s_wait_alu 0xf1ff
	v_add_co_ci_u32_e64 v5, s0, v3, v5, s0
	v_cmp_eq_u32_e64 s0, 0x5f, v0
	v_add_nc_u32_e32 v39, 0x400, v38
	v_add_nc_u32_e32 v40, 0x800, v38
	s_clause 0x1d
	global_load_b32 v6, v[4:5], off
	global_load_b32 v7, v[4:5], off offset:384
	global_load_b32 v8, v[4:5], off offset:768
	;; [unrolled: 1-line block ×29, first 2 shown]
	v_dual_mov_b32 v5, v1 :: v_dual_mov_b32 v4, v0
	v_add_nc_u32_e32 v1, 0x200, v38
	v_add_nc_u32_e32 v41, 0xc00, v38
	;; [unrolled: 1-line block ×12, first 2 shown]
	s_wait_loadcnt 0x1c
	ds_store_2addr_b32 v38, v6, v7 offset1:96
	s_wait_loadcnt 0x1a
	ds_store_2addr_b32 v1, v8, v9 offset0:64 offset1:160
	s_wait_loadcnt 0x18
	ds_store_2addr_b32 v39, v10, v11 offset0:128 offset1:224
	s_wait_loadcnt 0x16
	ds_store_2addr_b32 v40, v12, v13 offset0:64 offset1:160
	s_wait_loadcnt 0x14
	ds_store_2addr_b32 v41, v14, v15 offset1:96
	s_wait_loadcnt 0x12
	ds_store_2addr_b32 v42, v16, v17 offset0:64 offset1:160
	s_wait_loadcnt 0x10
	ds_store_2addr_b32 v43, v18, v19 offset0:128 offset1:224
	s_wait_loadcnt 0xe
	ds_store_2addr_b32 v44, v20, v21 offset0:64 offset1:160
	;; [unrolled: 8-line block ×3, first 2 shown]
	s_wait_loadcnt 0x4
	ds_store_2addr_b32 v49, v32, v33 offset1:96
	s_wait_loadcnt 0x2
	ds_store_2addr_b32 v50, v34, v35 offset0:64 offset1:160
	s_wait_loadcnt 0x0
	ds_store_2addr_b32 v51, v36, v37 offset0:128 offset1:224
	s_and_saveexec_b32 s2, s0
	s_cbranch_execz .LBB0_12
; %bb.11:
	global_load_b32 v1, v[2:3], off offset:11520
	v_mov_b32_e32 v4, 0x5f
	v_dual_mov_b32 v2, 0 :: v_dual_mov_b32 v5, 0
	v_mov_b32_e32 v0, 0x5f
	s_wait_loadcnt 0x0
	ds_store_b32 v2, v1 offset:11520
.LBB0_12:
	s_wait_alu 0xfffe
	s_or_b32 exec_lo, exec_lo, s2
	v_mov_b32_e32 v20, v0
	v_dual_mov_b32 v0, v4 :: v_dual_mov_b32 v1, v5
.LBB0_13:
	s_wait_alu 0xfffe
	s_or_b32 exec_lo, exec_lo, s1
	s_delay_alu instid0(VALU_DEP_2)
	v_lshlrev_b32_e32 v2, 2, v20
	global_wb scope:SCOPE_SE
	s_wait_dscnt 0x0
	s_barrier_signal -1
	s_barrier_wait -1
	global_inv scope:SCOPE_SE
	v_add_nc_u32_e32 v56, 0, v2
	v_sub_nc_u32_e32 v2, 0, v2
	v_lshlrev_b64_e32 v[24:25], 2, v[0:1]
	s_mov_b32 s1, exec_lo
	ds_load_u16 v3, v56
	ds_load_u16 v4, v2 offset:11520
	s_wait_dscnt 0x0
	v_add_f16_e32 v0, v4, v3
	v_sub_f16_e32 v1, v3, v4
	v_cmpx_ne_u32_e32 0, v20
	s_wait_alu 0xfffe
	s_xor_b32 s1, exec_lo, s1
	s_cbranch_execz .LBB0_15
; %bb.14:
	v_add_co_u32 v0, s0, s4, v24
	s_wait_alu 0xf1ff
	v_add_co_ci_u32_e64 v1, s0, s5, v25, s0
	v_add_f16_e32 v6, v4, v3
	v_sub_f16_e32 v3, v3, v4
	global_load_b32 v5, v[0:1], off offset:11480
	ds_load_u16 v0, v2 offset:11522
	ds_load_u16 v1, v56 offset:2
	s_wait_dscnt 0x0
	v_add_f16_e32 v4, v0, v1
	v_sub_f16_e32 v0, v1, v0
	s_wait_loadcnt 0x0
	v_lshrrev_b32_e32 v7, 16, v5
	s_delay_alu instid0(VALU_DEP_1) | instskip(NEXT) | instid1(VALU_DEP_3)
	v_fma_f16 v8, -v3, v7, v6
	v_fma_f16 v9, v4, v7, -v0
	v_fma_f16 v6, v3, v7, v6
	v_fma_f16 v1, v4, v7, v0
	s_delay_alu instid0(VALU_DEP_4) | instskip(NEXT) | instid1(VALU_DEP_4)
	v_fmac_f16_e32 v8, v5, v4
	v_fmac_f16_e32 v9, v3, v5
	s_delay_alu instid0(VALU_DEP_4) | instskip(NEXT) | instid1(VALU_DEP_4)
	v_fma_f16 v0, -v5, v4, v6
	v_fmac_f16_e32 v1, v3, v5
	s_delay_alu instid0(VALU_DEP_3)
	v_pack_b32_f16 v4, v8, v9
	ds_store_b32 v2, v4 offset:11520
.LBB0_15:
	s_wait_alu 0xfffe
	s_and_not1_saveexec_b32 s0, s1
	s_cbranch_execz .LBB0_17
; %bb.16:
	v_mov_b32_e32 v3, 0
	ds_load_b32 v4, v3 offset:5760
	s_wait_dscnt 0x0
	v_pk_mul_f16 v4, 0xc0004000, v4
	ds_store_b32 v3, v4 offset:5760
.LBB0_17:
	s_wait_alu 0xfffe
	s_or_b32 exec_lo, exec_lo, s0
	v_dual_mov_b32 v21, 0 :: v_dual_add_nc_u32 v58, 0x800, v56
	s_add_nc_u64 s[0:1], s[4:5], 0x2cd8
	v_perm_b32 v0, v1, v0, 0x5040100
	v_add_nc_u32_e32 v60, 0x1000, v56
	s_delay_alu instid0(VALU_DEP_3)
	v_lshlrev_b64_e32 v[26:27], 2, v[20:21]
	v_add_nc_u32_e32 v64, 0x1a00, v56
	v_add_nc_u32_e32 v62, 0x2400, v56
	;; [unrolled: 1-line block ×5, first 2 shown]
	s_wait_alu 0xfffe
	v_add_co_u32 v3, s0, s0, v26
	s_wait_alu 0xf1ff
	v_add_co_ci_u32_e64 v4, s0, s1, v27, s0
	v_add_nc_u32_e32 v63, 0x1c00, v56
	v_add_nc_u32_e32 v65, 0x2600, v56
	;; [unrolled: 1-line block ×3, first 2 shown]
	s_clause 0x5
	global_load_b32 v5, v[3:4], off offset:384
	global_load_b32 v6, v[3:4], off offset:768
	;; [unrolled: 1-line block ×6, first 2 shown]
	ds_store_b32 v56, v0
	global_load_b32 v0, v[3:4], off offset:2688
	ds_load_b32 v1, v56 offset:384
	ds_load_b32 v11, v2 offset:11136
	global_load_b32 v14, v[3:4], off offset:3072
	v_add_nc_u32_e32 v66, 0xe00, v56
	v_add_nc_u32_e32 v70, 0x1800, v56
	;; [unrolled: 1-line block ×4, first 2 shown]
	v_add_nc_u16 v30, v20, 0x60
	v_or_b32_e32 v32, 0x180, v20
	v_add_nc_u32_e32 v31, 0xc0, v20
	v_add_nc_u32_e32 v71, 0x120, v20
	v_cmp_gt_u32_e64 s0, 60, v20
	v_and_b32_e32 v50, 0xff, v30
	v_and_b32_e32 v33, 0xffff, v32
	;; [unrolled: 1-line block ×4, first 2 shown]
	s_wait_dscnt 0x1
	v_lshrrev_b32_e32 v12, 16, v1
	s_wait_dscnt 0x0
	v_lshrrev_b32_e32 v13, 16, v11
	v_add_f16_e32 v15, v1, v11
	v_sub_f16_e32 v1, v1, v11
	s_delay_alu instid0(VALU_DEP_3) | instskip(SKIP_3) | instid1(VALU_DEP_1)
	v_add_f16_e32 v11, v13, v12
	v_sub_f16_e32 v12, v12, v13
	s_wait_loadcnt 0x7
	v_lshrrev_b32_e32 v16, 16, v5
	v_fma_f16 v13, v1, v16, v15
	s_delay_alu instid0(VALU_DEP_3) | instskip(SKIP_2) | instid1(VALU_DEP_4)
	v_fma_f16 v17, v11, v16, v12
	v_fma_f16 v15, -v1, v16, v15
	v_fma_f16 v12, v11, v16, -v12
	v_fma_f16 v13, -v5, v11, v13
	s_delay_alu instid0(VALU_DEP_4) | instskip(NEXT) | instid1(VALU_DEP_4)
	v_fmac_f16_e32 v17, v1, v5
	v_fmac_f16_e32 v15, v5, v11
	s_delay_alu instid0(VALU_DEP_4) | instskip(NEXT) | instid1(VALU_DEP_3)
	v_fmac_f16_e32 v12, v1, v5
	v_pack_b32_f16 v1, v13, v17
	s_wait_loadcnt 0x6
	v_lshrrev_b32_e32 v13, 16, v6
	s_delay_alu instid0(VALU_DEP_3)
	v_pack_b32_f16 v5, v15, v12
	ds_store_b32 v56, v1 offset:384
	ds_store_b32 v2, v5 offset:11136
	ds_load_b32 v1, v56 offset:768
	ds_load_b32 v5, v2 offset:10752
	s_wait_dscnt 0x1
	v_lshrrev_b32_e32 v11, 16, v1
	s_wait_dscnt 0x0
	v_lshrrev_b32_e32 v12, 16, v5
	v_add_f16_e32 v15, v1, v5
	v_sub_f16_e32 v1, v1, v5
	s_delay_alu instid0(VALU_DEP_3) | instskip(SKIP_1) | instid1(VALU_DEP_3)
	v_add_f16_e32 v5, v12, v11
	v_sub_f16_e32 v11, v11, v12
	v_fma_f16 v12, v1, v13, v15
	v_fma_f16 v15, -v1, v13, v15
	s_delay_alu instid0(VALU_DEP_3) | instskip(SKIP_1) | instid1(VALU_DEP_4)
	v_fma_f16 v16, v5, v13, v11
	v_fma_f16 v11, v5, v13, -v11
	v_fma_f16 v12, -v6, v5, v12
	s_delay_alu instid0(VALU_DEP_4)
	v_fmac_f16_e32 v15, v6, v5
	s_wait_loadcnt 0x5
	v_lshrrev_b32_e32 v13, 16, v7
	v_fmac_f16_e32 v16, v1, v6
	v_fmac_f16_e32 v11, v1, v6
	global_load_b32 v6, v[3:4], off offset:3456
	v_pack_b32_f16 v1, v12, v16
	v_pack_b32_f16 v5, v15, v11
	ds_store_b32 v56, v1 offset:768
	ds_store_b32 v2, v5 offset:10752
	ds_load_b32 v1, v56 offset:1152
	ds_load_b32 v5, v2 offset:10368
	s_wait_dscnt 0x1
	v_lshrrev_b32_e32 v11, 16, v1
	s_wait_dscnt 0x0
	v_lshrrev_b32_e32 v12, 16, v5
	v_add_f16_e32 v15, v1, v5
	v_sub_f16_e32 v1, v1, v5
	s_delay_alu instid0(VALU_DEP_3) | instskip(SKIP_1) | instid1(VALU_DEP_3)
	v_add_f16_e32 v5, v12, v11
	v_sub_f16_e32 v11, v11, v12
	v_fma_f16 v12, v1, v13, v15
	v_fma_f16 v15, -v1, v13, v15
	s_delay_alu instid0(VALU_DEP_3) | instskip(SKIP_1) | instid1(VALU_DEP_4)
	v_fma_f16 v16, v5, v13, v11
	v_fma_f16 v11, v5, v13, -v11
	v_fma_f16 v12, -v7, v5, v12
	s_delay_alu instid0(VALU_DEP_4)
	v_fmac_f16_e32 v15, v7, v5
	s_wait_loadcnt 0x5
	v_lshrrev_b32_e32 v13, 16, v8
	v_fmac_f16_e32 v16, v1, v7
	v_fmac_f16_e32 v11, v1, v7
	global_load_b32 v7, v[3:4], off offset:3840
	v_pack_b32_f16 v1, v12, v16
	v_pack_b32_f16 v5, v15, v11
	ds_store_b32 v56, v1 offset:1152
	ds_store_b32 v2, v5 offset:10368
	ds_load_b32 v1, v56 offset:1536
	ds_load_b32 v5, v2 offset:9984
	s_wait_dscnt 0x1
	v_lshrrev_b32_e32 v11, 16, v1
	s_wait_dscnt 0x0
	v_lshrrev_b32_e32 v12, 16, v5
	v_add_f16_e32 v15, v1, v5
	v_sub_f16_e32 v1, v1, v5
	s_delay_alu instid0(VALU_DEP_3) | instskip(SKIP_1) | instid1(VALU_DEP_3)
	v_add_f16_e32 v5, v12, v11
	v_sub_f16_e32 v11, v11, v12
	v_fma_f16 v12, v1, v13, v15
	v_fma_f16 v15, -v1, v13, v15
	s_delay_alu instid0(VALU_DEP_3) | instskip(SKIP_1) | instid1(VALU_DEP_4)
	v_fma_f16 v16, v5, v13, v11
	v_fma_f16 v11, v5, v13, -v11
	v_fma_f16 v12, -v8, v5, v12
	s_delay_alu instid0(VALU_DEP_4)
	v_fmac_f16_e32 v15, v8, v5
	s_wait_loadcnt 0x5
	v_lshrrev_b32_e32 v13, 16, v9
	v_fmac_f16_e32 v16, v1, v8
	v_fmac_f16_e32 v11, v1, v8
	global_load_b32 v8, v[3:4], off offset:4224
	v_pack_b32_f16 v1, v12, v16
	v_pack_b32_f16 v5, v15, v11
	ds_store_b32 v56, v1 offset:1536
	ds_store_b32 v2, v5 offset:9984
	ds_load_b32 v1, v56 offset:1920
	ds_load_b32 v5, v2 offset:9600
	s_wait_dscnt 0x1
	v_lshrrev_b32_e32 v11, 16, v1
	s_wait_dscnt 0x0
	v_lshrrev_b32_e32 v12, 16, v5
	v_add_f16_e32 v15, v1, v5
	v_sub_f16_e32 v1, v1, v5
	s_delay_alu instid0(VALU_DEP_3) | instskip(SKIP_1) | instid1(VALU_DEP_3)
	v_add_f16_e32 v5, v12, v11
	v_sub_f16_e32 v11, v11, v12
	v_fma_f16 v12, v1, v13, v15
	v_fma_f16 v15, -v1, v13, v15
	s_delay_alu instid0(VALU_DEP_3) | instskip(SKIP_1) | instid1(VALU_DEP_4)
	v_fma_f16 v16, v5, v13, v11
	v_fma_f16 v11, v5, v13, -v11
	v_fma_f16 v12, -v9, v5, v12
	s_delay_alu instid0(VALU_DEP_4)
	v_fmac_f16_e32 v15, v9, v5
	s_wait_loadcnt 0x5
	v_lshrrev_b32_e32 v13, 16, v10
	v_fmac_f16_e32 v16, v1, v9
	v_fmac_f16_e32 v11, v1, v9
	global_load_b32 v9, v[3:4], off offset:4608
	v_pack_b32_f16 v1, v12, v16
	v_pack_b32_f16 v5, v15, v11
	ds_store_b32 v56, v1 offset:1920
	ds_store_b32 v2, v5 offset:9600
	ds_load_b32 v1, v56 offset:2304
	ds_load_b32 v5, v2 offset:9216
	s_wait_dscnt 0x1
	v_lshrrev_b32_e32 v11, 16, v1
	s_wait_dscnt 0x0
	v_lshrrev_b32_e32 v12, 16, v5
	v_add_f16_e32 v15, v1, v5
	v_sub_f16_e32 v1, v1, v5
	s_delay_alu instid0(VALU_DEP_3) | instskip(SKIP_1) | instid1(VALU_DEP_3)
	v_add_f16_e32 v5, v12, v11
	v_sub_f16_e32 v11, v11, v12
	v_fma_f16 v12, v1, v13, v15
	v_fma_f16 v15, -v1, v13, v15
	s_delay_alu instid0(VALU_DEP_3) | instskip(SKIP_1) | instid1(VALU_DEP_4)
	v_fma_f16 v16, v5, v13, v11
	v_fma_f16 v11, v5, v13, -v11
	v_fma_f16 v12, -v10, v5, v12
	s_delay_alu instid0(VALU_DEP_4)
	v_fmac_f16_e32 v15, v10, v5
	s_wait_loadcnt 0x5
	v_lshrrev_b32_e32 v13, 16, v0
	v_fmac_f16_e32 v16, v1, v10
	v_fmac_f16_e32 v11, v1, v10
	global_load_b32 v10, v[3:4], off offset:4992
	v_pack_b32_f16 v1, v12, v16
	v_pack_b32_f16 v5, v15, v11
	ds_store_b32 v56, v1 offset:2304
	ds_store_b32 v2, v5 offset:9216
	ds_load_b32 v1, v56 offset:2688
	ds_load_b32 v5, v2 offset:8832
	s_wait_dscnt 0x1
	v_lshrrev_b32_e32 v11, 16, v1
	s_wait_dscnt 0x0
	v_lshrrev_b32_e32 v12, 16, v5
	v_add_f16_e32 v15, v1, v5
	v_sub_f16_e32 v1, v1, v5
	s_delay_alu instid0(VALU_DEP_3) | instskip(SKIP_1) | instid1(VALU_DEP_3)
	v_add_f16_e32 v5, v12, v11
	v_sub_f16_e32 v11, v11, v12
	v_fma_f16 v12, v1, v13, v15
	v_fma_f16 v15, -v1, v13, v15
	s_delay_alu instid0(VALU_DEP_3) | instskip(SKIP_1) | instid1(VALU_DEP_4)
	v_fma_f16 v16, v5, v13, v11
	v_fma_f16 v11, v5, v13, -v11
	v_fma_f16 v12, -v0, v5, v12
	s_delay_alu instid0(VALU_DEP_4) | instskip(NEXT) | instid1(VALU_DEP_4)
	v_fmac_f16_e32 v15, v0, v5
	v_fmac_f16_e32 v16, v1, v0
	s_delay_alu instid0(VALU_DEP_4)
	v_fmac_f16_e32 v11, v1, v0
	global_load_b32 v0, v[3:4], off offset:5376
	v_pack_b32_f16 v1, v12, v16
	v_pack_b32_f16 v5, v15, v11
	ds_store_b32 v56, v1 offset:2688
	ds_store_b32 v2, v5 offset:8832
	ds_load_b32 v1, v56 offset:3072
	ds_load_b32 v3, v2 offset:8448
	s_wait_loadcnt 0x6
	v_lshrrev_b32_e32 v11, 16, v14
	s_wait_dscnt 0x1
	v_lshrrev_b32_e32 v4, 16, v1
	s_wait_dscnt 0x0
	v_lshrrev_b32_e32 v5, 16, v3
	v_add_f16_e32 v12, v1, v3
	v_sub_f16_e32 v1, v1, v3
	s_delay_alu instid0(VALU_DEP_3) | instskip(SKIP_1) | instid1(VALU_DEP_3)
	v_add_f16_e32 v3, v5, v4
	v_sub_f16_e32 v4, v4, v5
	v_fma_f16 v5, v1, v11, v12
	v_fma_f16 v12, -v1, v11, v12
	s_delay_alu instid0(VALU_DEP_3) | instskip(SKIP_1) | instid1(VALU_DEP_4)
	v_fma_f16 v13, v3, v11, v4
	v_fma_f16 v4, v3, v11, -v4
	v_fma_f16 v5, -v14, v3, v5
	s_delay_alu instid0(VALU_DEP_4) | instskip(NEXT) | instid1(VALU_DEP_4)
	v_fmac_f16_e32 v12, v14, v3
	v_fmac_f16_e32 v13, v1, v14
	s_delay_alu instid0(VALU_DEP_4) | instskip(NEXT) | instid1(VALU_DEP_2)
	v_fmac_f16_e32 v4, v1, v14
	v_pack_b32_f16 v1, v5, v13
	s_delay_alu instid0(VALU_DEP_2)
	v_pack_b32_f16 v3, v12, v4
	ds_store_b32 v56, v1 offset:3072
	ds_store_b32 v2, v3 offset:8448
	ds_load_b32 v1, v56 offset:3456
	ds_load_b32 v3, v2 offset:8064
	s_wait_dscnt 0x1
	v_lshrrev_b32_e32 v4, 16, v1
	s_wait_dscnt 0x0
	v_lshrrev_b32_e32 v5, 16, v3
	v_add_f16_e32 v12, v1, v3
	v_sub_f16_e32 v1, v1, v3
	s_delay_alu instid0(VALU_DEP_3) | instskip(SKIP_3) | instid1(VALU_DEP_1)
	v_add_f16_e32 v3, v5, v4
	v_sub_f16_e32 v4, v4, v5
	s_wait_loadcnt 0x5
	v_lshrrev_b32_e32 v11, 16, v6
	v_fma_f16 v5, v1, v11, v12
	s_delay_alu instid0(VALU_DEP_3) | instskip(SKIP_2) | instid1(VALU_DEP_4)
	v_fma_f16 v13, v3, v11, v4
	v_fma_f16 v12, -v1, v11, v12
	v_fma_f16 v4, v3, v11, -v4
	v_fma_f16 v5, -v6, v3, v5
	s_delay_alu instid0(VALU_DEP_4) | instskip(NEXT) | instid1(VALU_DEP_4)
	v_fmac_f16_e32 v13, v1, v6
	v_fmac_f16_e32 v12, v6, v3
	s_delay_alu instid0(VALU_DEP_4) | instskip(NEXT) | instid1(VALU_DEP_3)
	v_fmac_f16_e32 v4, v1, v6
	v_pack_b32_f16 v1, v5, v13
	s_delay_alu instid0(VALU_DEP_2)
	v_pack_b32_f16 v3, v12, v4
	ds_store_b32 v56, v1 offset:3456
	ds_store_b32 v2, v3 offset:8064
	ds_load_b32 v1, v56 offset:3840
	ds_load_b32 v3, v2 offset:7680
	s_wait_dscnt 0x1
	v_lshrrev_b32_e32 v4, 16, v1
	s_wait_dscnt 0x0
	v_lshrrev_b32_e32 v5, 16, v3
	v_add_f16_e32 v11, v1, v3
	v_sub_f16_e32 v1, v1, v3
	s_wait_loadcnt 0x4
	v_lshrrev_b32_e32 v6, 16, v7
	v_add_f16_e32 v3, v5, v4
	v_sub_f16_e32 v4, v4, v5
	s_delay_alu instid0(VALU_DEP_3) | instskip(SKIP_1) | instid1(VALU_DEP_3)
	v_fma_f16 v5, v1, v6, v11
	v_fma_f16 v11, -v1, v6, v11
	v_fma_f16 v12, v3, v6, v4
	v_fma_f16 v4, v3, v6, -v4
	s_delay_alu instid0(VALU_DEP_4) | instskip(NEXT) | instid1(VALU_DEP_4)
	v_fma_f16 v5, -v7, v3, v5
	v_fmac_f16_e32 v11, v7, v3
	s_delay_alu instid0(VALU_DEP_4) | instskip(NEXT) | instid1(VALU_DEP_4)
	v_fmac_f16_e32 v12, v1, v7
	v_fmac_f16_e32 v4, v1, v7
	s_delay_alu instid0(VALU_DEP_2) | instskip(NEXT) | instid1(VALU_DEP_2)
	v_pack_b32_f16 v1, v5, v12
	v_pack_b32_f16 v3, v11, v4
	ds_store_b32 v56, v1 offset:3840
	ds_store_b32 v2, v3 offset:7680
	ds_load_b32 v1, v56 offset:4224
	ds_load_b32 v3, v2 offset:7296
	s_wait_dscnt 0x1
	v_lshrrev_b32_e32 v4, 16, v1
	s_wait_dscnt 0x0
	v_lshrrev_b32_e32 v5, 16, v3
	v_add_f16_e32 v7, v1, v3
	v_sub_f16_e32 v1, v1, v3
	s_wait_loadcnt 0x3
	v_lshrrev_b32_e32 v6, 16, v8
	v_add_f16_e32 v3, v5, v4
	v_sub_f16_e32 v4, v4, v5
	s_delay_alu instid0(VALU_DEP_3) | instskip(SKIP_1) | instid1(VALU_DEP_3)
	v_fma_f16 v5, v1, v6, v7
	v_fma_f16 v7, -v1, v6, v7
	v_fma_f16 v11, v3, v6, v4
	v_fma_f16 v4, v3, v6, -v4
	s_delay_alu instid0(VALU_DEP_4) | instskip(NEXT) | instid1(VALU_DEP_4)
	v_fma_f16 v5, -v8, v3, v5
	v_fmac_f16_e32 v7, v8, v3
	s_delay_alu instid0(VALU_DEP_4) | instskip(NEXT) | instid1(VALU_DEP_4)
	v_fmac_f16_e32 v11, v1, v8
	v_fmac_f16_e32 v4, v1, v8
	s_delay_alu instid0(VALU_DEP_2) | instskip(NEXT) | instid1(VALU_DEP_2)
	v_pack_b32_f16 v1, v5, v11
	;; [unrolled: 28-line block ×4, first 2 shown]
	v_pack_b32_f16 v3, v7, v4
	ds_store_b32 v56, v1 offset:4992
	ds_store_b32 v2, v3 offset:6528
	ds_load_b32 v1, v56 offset:5376
	ds_load_b32 v3, v2 offset:6144
	v_and_b32_e32 v5, 0xff, v20
	v_mul_u32_u24_e32 v4, 10, v20
	s_delay_alu instid0(VALU_DEP_2)
	v_mul_lo_u16 v19, 0xcd, v5
	s_wait_dscnt 0x1
	v_lshrrev_b32_e32 v8, 16, v1
	s_wait_dscnt 0x0
	v_lshrrev_b32_e32 v9, 16, v3
	v_add_f16_e32 v7, v1, v3
	v_sub_f16_e32 v1, v1, v3
	s_wait_loadcnt 0x0
	v_lshrrev_b32_e32 v6, 16, v0
	v_add_f16_e32 v3, v9, v8
	v_sub_f16_e32 v8, v8, v9
	s_delay_alu instid0(VALU_DEP_3) | instskip(SKIP_1) | instid1(VALU_DEP_3)
	v_fma_f16 v9, v1, v6, v7
	v_fma_f16 v7, -v1, v6, v7
	v_fma_f16 v10, v3, v6, v8
	v_fma_f16 v6, v3, v6, -v8
	s_delay_alu instid0(VALU_DEP_4) | instskip(NEXT) | instid1(VALU_DEP_4)
	v_fma_f16 v8, -v0, v3, v9
	v_fmac_f16_e32 v7, v0, v3
	s_delay_alu instid0(VALU_DEP_4) | instskip(NEXT) | instid1(VALU_DEP_4)
	v_fmac_f16_e32 v10, v1, v0
	v_fmac_f16_e32 v6, v1, v0
	v_lshl_add_u32 v0, v4, 2, 0
	s_delay_alu instid0(VALU_DEP_3) | instskip(NEXT) | instid1(VALU_DEP_3)
	v_pack_b32_f16 v1, v8, v10
	v_pack_b32_f16 v3, v7, v6
	ds_store_b32 v56, v1 offset:5376
	ds_store_b32 v2, v3 offset:6144
	global_wb scope:SCOPE_SE
	s_wait_dscnt 0x0
	s_barrier_signal -1
	s_barrier_wait -1
	global_inv scope:SCOPE_SE
	global_wb scope:SCOPE_SE
	s_barrier_signal -1
	s_barrier_wait -1
	global_inv scope:SCOPE_SE
	ds_load_2addr_b32 v[7:8], v60 offset0:128 offset1:224
	ds_load_2addr_b32 v[9:10], v64 offset0:64 offset1:160
	;; [unrolled: 1-line block ×3, first 2 shown]
	ds_load_2addr_b32 v[13:14], v62 offset1:96
	ds_load_2addr_b32 v[15:16], v56 offset1:96
	ds_load_2addr_b32 v[17:18], v57 offset0:64 offset1:160
	ds_load_2addr_b32 v[28:29], v59 offset1:96
	ds_load_2addr_b32 v[36:37], v61 offset0:64 offset1:160
	ds_load_2addr_b32 v[38:39], v63 offset0:128 offset1:224
	;; [unrolled: 1-line block ×5, first 2 shown]
	ds_load_2addr_b32 v[46:47], v70 offset1:96
	ds_load_2addr_b32 v[48:49], v69 offset0:64 offset1:160
	ds_load_2addr_b32 v[52:53], v68 offset0:128 offset1:224
	v_add_nc_u32_e32 v1, 0xf00, v0
	v_add_nc_u32_e32 v2, 0xf08, v0
	;; [unrolled: 1-line block ×6, first 2 shown]
	global_wb scope:SCOPE_SE
	s_wait_dscnt 0x0
	s_barrier_signal -1
	s_barrier_wait -1
	v_lshrrev_b32_e32 v80, 16, v15
	v_lshrrev_b32_e32 v92, 16, v18
	v_pk_add_f16 v109, v17, v28
	v_lshrrev_b32_e32 v110, 16, v36
	v_add_f16_e32 v107, v36, v38
	v_sub_f16_e32 v111, v28, v36
	v_sub_f16_e32 v113, v36, v28
	v_add_f16_e32 v51, v7, v9
	v_pk_add_f16 v79, v15, v11
	v_pk_add_f16 v103, v16, v12
	v_sub_f16_e32 v115, v36, v38
	v_pk_add_f16 v36, v109, v36
	v_lshrrev_b32_e32 v54, 16, v11
	v_lshrrev_b32_e32 v55, 16, v13
	;; [unrolled: 1-line block ×4, first 2 shown]
	v_sub_f16_e32 v74, v13, v9
	v_sub_f16_e32 v75, v11, v7
	v_add_f16_e32 v76, v11, v13
	v_sub_f16_e32 v77, v9, v13
	v_sub_f16_e32 v78, v7, v11
	;; [unrolled: 1-line block ×3, first 2 shown]
	v_add_f16_e32 v82, v37, v39
	v_lshrrev_b32_e32 v83, 16, v29
	v_lshrrev_b32_e32 v84, 16, v37
	;; [unrolled: 1-line block ×3, first 2 shown]
	v_sub_f16_e32 v86, v45, v39
	v_sub_f16_e32 v87, v29, v37
	v_add_f16_e32 v88, v29, v45
	v_sub_f16_e32 v89, v39, v45
	v_sub_f16_e32 v90, v37, v29
	v_pk_add_f16 v91, v18, v29
	v_add_f16_e32 v94, v8, v10
	v_lshrrev_b32_e32 v95, 16, v12
	v_lshrrev_b32_e32 v96, 16, v8
	;; [unrolled: 1-line block ×3, first 2 shown]
	v_sub_f16_e32 v98, v14, v10
	v_sub_f16_e32 v99, v12, v8
	v_add_f16_e32 v100, v12, v14
	v_sub_f16_e32 v101, v10, v14
	v_sub_f16_e32 v102, v8, v12
	;; [unrolled: 1-line block ×3, first 2 shown]
	v_pk_add_f16 v106, v40, v42
	v_lshrrev_b32_e32 v108, 16, v28
	v_add_f16_e32 v112, v28, v44
	v_sub_f16_e32 v114, v44, v38
	v_sub_f16_e32 v116, v38, v44
	v_pk_add_f16 v117, v41, v43
	v_lshrrev_b32_e32 v118, 16, v38
	v_sub_f16_e32 v119, v52, v48
	v_add_f16_e32 v121, v42, v52
	v_sub_f16_e32 v122, v48, v52
	v_sub_f16_e32 v123, v42, v52
	;; [unrolled: 1-line block ×3, first 2 shown]
	v_add_f16_e32 v125, v43, v53
	v_lshrrev_b32_e32 v128, 16, v42
	v_sub_f16_e64 v129, v42, v46
	v_sub_f16_e32 v42, v46, v42
	v_sub_f16_e64 v131, v43, v47
	v_add_f16_e64 v132, v46, v48
	v_lshrrev_b32_e32 v133, 16, v46
	v_add_f16_e64 v135, v47, v49
	v_lshrrev_b32_e32 v140, 16, v48
	v_lshrrev_b32_e32 v141, 16, v45
	v_pk_add_f16 v7, v79, v7
	v_pk_add_f16 v8, v103, v8
	v_lshrrev_b32_e32 v79, 16, v14
	v_lshrrev_b32_e32 v103, 16, v44
	v_fma_f16 v142, -0.5, v51, v15
	v_lshrrev_b32_e32 v51, 16, v52
	v_pk_add_f16 v144, v36, v38
	v_mul_lo_u16 v36, 0xcd, v50
	v_sub_f16_e32 v93, v37, v39
	v_lshrrev_b32_e32 v104, 16, v16
	v_lshrrev_b32_e32 v120, 16, v17
	v_sub_f16_e32 v127, v43, v53
	v_lshrrev_b32_e32 v130, 16, v43
	v_sub_f16_e32 v43, v47, v43
	v_sub_f16_e64 v134, v46, v48
	v_lshrrev_b32_e32 v136, 16, v47
	v_sub_f16_e64 v137, v47, v49
	v_lshrrev_b32_e32 v138, 16, v40
	v_lshrrev_b32_e32 v139, 16, v41
	v_fma_f16 v15, -0.5, v76, v15
	v_fma_f16 v76, -0.5, v94, v16
	;; [unrolled: 1-line block ×3, first 2 shown]
	v_pk_add_f16 v37, v91, v37
	v_fma_f16 v82, -0.5, v82, v18
	v_fma_f16 v18, -0.5, v88, v18
	v_fma_f16 v88, -0.5, v107, v17
	v_fma_f16 v17, -0.5, v112, v17
	v_pk_add_f16 v46, v106, v46
	v_pk_add_f16 v47, v117, v47
	v_fma_f16 v91, -0.5, v132, v40
	v_fma_f16 v94, -0.5, v121, v40
	;; [unrolled: 1-line block ×4, first 2 shown]
	v_add_f16_e32 v74, v75, v74
	v_add_f16_e32 v75, v78, v77
	v_sub_f16_e32 v77, v72, v73
	v_add_f16_e32 v40, v72, v73
	v_sub_f16_e32 v41, v54, v72
	v_sub_f16_e32 v72, v72, v54
	;; [unrolled: 1-line block ×3, first 2 shown]
	v_add_f16_e32 v54, v54, v55
	v_sub_f16_e32 v107, v55, v73
	v_sub_f16_e32 v55, v73, v55
	v_add_f16_e32 v73, v87, v86
	v_add_f16_e32 v86, v90, v89
	v_sub_f16_e32 v87, v84, v85
	v_add_f16_e32 v89, v84, v85
	v_sub_f16_e32 v90, v83, v84
	v_sub_f16_e32 v84, v84, v83
	v_sub_f16_e64 v109, v83, v141
	v_add_f16_e64 v83, v83, v141
	v_sub_f16_e64 v112, v141, v85
	v_sub_f16_e64 v85, v85, v141
	v_add_f16_e32 v98, v99, v98
	v_add_f16_e32 v99, v102, v101
	v_sub_f16_e32 v101, v96, v97
	v_add_f16_e32 v102, v96, v97
	v_sub_f16_e32 v117, v95, v96
	v_sub_f16_e32 v96, v96, v95
	;; [unrolled: 1-line block ×3, first 2 shown]
	v_add_f16_e32 v95, v95, v79
	v_sub_f16_e32 v125, v79, v97
	v_sub_f16_e32 v79, v97, v79
	v_add_f16_e64 v97, v129, v119
	v_add_f16_e32 v119, v42, v122
	v_sub_f16_e64 v122, v133, v140
	v_add_f16_e64 v42, v133, v140
	v_sub_f16_e64 v129, v128, v133
	v_sub_f16_e64 v132, v133, v128
	;; [unrolled: 1-line block ×3, first 2 shown]
	v_add_f16_e64 v128, v128, v51
	v_sub_f16_e64 v135, v51, v140
	v_sub_f16_e64 v140, v140, v51
	v_add_f16_e32 v111, v111, v114
	v_add_f16_e32 v113, v113, v116
	v_sub_f16_e32 v114, v110, v118
	v_add_f16_e32 v116, v110, v118
	v_sub_f16_e64 v141, v108, v110
	v_sub_f16_e32 v110, v110, v108
	v_pk_add_f16 v7, v7, v9
	v_pk_add_f16 v8, v8, v10
	v_sub_f16_e32 v9, v108, v103
	v_add_f16_e32 v10, v108, v103
	v_sub_f16_e32 v108, v103, v118
	v_sub_f16_e32 v103, v118, v103
	v_lshrrev_b32_e32 v118, 16, v49
	v_lshrrev_b16 v51, 11, v19
	v_add_f16_e64 v19, v131, v124
	v_lshrrev_b32_e32 v124, 16, v53
	v_lshrrev_b16 v36, 11, v36
	v_sub_f16_e32 v126, v49, v53
	v_add_f16_e64 v145, v136, v118
	v_pk_add_f16 v47, v47, v49
	v_add_f16_e64 v49, v130, v124
	v_add_f16_e32 v107, v41, v107
	v_mul_lo_u16 v41, v36, 10
	v_sub_f16_e64 v131, v136, v118
	v_sub_f16_e64 v146, v130, v136
	;; [unrolled: 1-line block ×3, first 2 shown]
	v_pk_add_f16 v46, v46, v48
	v_sub_f16_e64 v48, v130, v124
	v_sub_f16_e64 v130, v124, v118
	v_fma_f16 v89, -0.5, v89, v92
	v_fmac_f16_e32 v92, -0.5, v83
	v_add_f16_e32 v83, v84, v85
	v_fma_f16 v85, -0.5, v102, v104
	v_fmac_f16_e32 v104, -0.5, v95
	v_add_f16_e32 v79, v96, v79
	v_add_f16_e64 v95, v129, v135
	v_fma_f16 v96, -0.5, v42, v138
	v_fmac_f16_e64 v138, -0.5, v128
	v_fma_f16 v128, -0.5, v145, v139
	v_fmac_f16_e64 v139, -0.5, v49
	v_fma_f16 v49, 0x3b9c, v78, v142
	v_fmac_f16_e64 v142, 0xbb9c, v78
	v_fma_f16 v129, 0xbb9c, v77, v15
	v_fmac_f16_e32 v15, 0x3b9c, v77
	v_fma_f16 v147, -0.5, v40, v80
	v_mul_u32_u24_e32 v40, 0xcccd, v33
	v_sub_nc_u16 v102, v30, v41
	v_sub_f16_e32 v11, v11, v13
	v_sub_f16_e32 v29, v29, v45
	;; [unrolled: 1-line block ×3, first 2 shown]
	v_fmac_f16_e32 v80, -0.5, v54
	v_add_f16_e32 v103, v110, v103
	v_add_f16_e64 v110, v146, v130
	v_fma_f16 v130, 0x3b9c, v109, v82
	v_fmac_f16_e32 v82, 0xbb9c, v109
	v_pk_add_f16 v7, v7, v13
	v_fmamk_f16 v13, v121, 0x3b9c, v76
	v_fmac_f16_e32 v76, 0xbb9c, v121
	v_fmac_f16_e32 v49, 0x38b4, v77
	v_fmac_f16_e64 v142, 0xb8b4, v77
	v_fmamk_f16 v77, v48, 0x3b9c, v100
	v_fmac_f16_e64 v129, 0x38b4, v78
	v_fmac_f16_e32 v15, 0xb8b4, v78
	v_fma_f16 v78, 0xbb9c, v131, v106
	v_fmac_f16_e64 v106, 0x3b9c, v131
	v_pk_add_f16 v46, v46, v52
	v_fmamk_f16 v52, v9, 0x3b9c, v88
	v_fmac_f16_e32 v88, 0xbb9c, v9
	v_lshrrev_b32_e32 v41, 19, v40
	v_and_b32_e32 v40, 0xff, v102
	v_add_f16_e64 v102, v132, v140
	v_fma_f16 v132, 0xbb9c, v87, v18
	v_fmac_f16_e32 v18, 0x3b9c, v87
	v_fma_f16 v135, 0x3b9c, v133, v91
	v_fmac_f16_e64 v91, 0xbb9c, v133
	v_sub_f16_e32 v12, v12, v14
	v_pk_add_f16 v8, v8, v14
	v_fmamk_f16 v14, v101, 0xbb9c, v16
	v_fmac_f16_e32 v16, 0x3b9c, v101
	v_fma_f16 v116, -0.5, v116, v120
	v_fmac_f16_e32 v120, -0.5, v10
	v_add_f16_e64 v118, v136, v118
	v_fma_f16 v136, 0xbb9c, v122, v94
	v_fmac_f16_e32 v94, 0x3b9c, v122
	v_fmac_f16_e32 v100, 0xbb9c, v48
	v_fmac_f16_e64 v130, 0x38b4, v87
	v_fmac_f16_e32 v82, 0xb8b4, v87
	v_fmac_f16_e32 v13, 0x38b4, v101
	;; [unrolled: 1-line block ×3, first 2 shown]
	v_fmac_f16_e64 v77, 0x38b4, v131
	v_fmac_f16_e32 v78, 0x38b4, v48
	v_fmac_f16_e32 v106, 0xb8b4, v48
	v_fmamk_f16 v48, v81, 0x3b9c, v80
	v_fmac_f16_e32 v80, 0xbb9c, v81
	v_fmamk_f16 v87, v29, 0xbb9c, v89
	v_fmamk_f16 v101, v93, 0x3b9c, v92
	v_fmac_f16_e32 v92, 0xbb9c, v93
	v_fmac_f16_e32 v49, 0x34f2, v74
	v_fmac_f16_e64 v142, 0x34f2, v74
	v_fma_f16 v74, 0xbb9c, v127, v128
	v_pk_add_f16 v47, v47, v53
	v_fmamk_f16 v53, v114, 0xbb9c, v17
	v_fmac_f16_e32 v17, 0x3b9c, v114
	v_fmac_f16_e32 v52, 0x38b4, v114
	;; [unrolled: 1-line block ×4, first 2 shown]
	v_fmamk_f16 v114, v105, 0x3b9c, v104
	v_fmac_f16_e32 v104, 0xbb9c, v105
	v_fmac_f16_e32 v18, 0xb8b4, v109
	v_fmac_f16_e64 v135, 0x38b4, v122
	v_fmac_f16_e32 v91, 0xb8b4, v122
	v_fma_f16 v122, 0x3b9c, v134, v138
	v_add_f16_e32 v126, v43, v126
	v_pk_add_f16 v143, v37, v39
	v_fmac_f16_e64 v132, 0x38b4, v109
	v_fmac_f16_e32 v14, 0x38b4, v121
	v_fmac_f16_e32 v16, 0xb8b4, v121
	v_fmamk_f16 v109, v12, 0xbb9c, v85
	v_fmac_f16_e32 v85, 0x3b9c, v12
	v_fmamk_f16 v121, v123, 0xbb9c, v96
	v_fmac_f16_e32 v96, 0x3b9c, v123
	v_fmac_f16_e64 v138, 0xbb9c, v134
	v_fmac_f16_e64 v128, 0x3b9c, v127
	;; [unrolled: 1-line block ×3, first 2 shown]
	v_fmac_f16_e32 v15, 0x34f2, v75
	v_fma_f16 v75, 0x3b9c, v137, v139
	v_fmac_f16_e64 v139, 0xbb9c, v137
	v_sub_f16_e32 v28, v28, v44
	v_add_f16_e32 v55, v72, v55
	v_add_f16_e32 v90, v90, v112
	v_pk_add_f16 v44, v144, v44
	v_fmac_f16_e64 v136, 0x38b4, v133
	v_fmac_f16_e64 v94, 0xb8b4, v133
	;; [unrolled: 1-line block ×3, first 2 shown]
	v_fma_f16 v133, 0x3b9c, v115, v120
	v_fmac_f16_e32 v120, 0xbb9c, v115
	v_fmac_f16_e32 v48, 0xb8b4, v11
	;; [unrolled: 1-line block ×3, first 2 shown]
	v_fmac_f16_e64 v130, 0x34f2, v73
	v_fmac_f16_e32 v87, 0xb8b4, v93
	v_fmac_f16_e32 v101, 0xb8b4, v29
	;; [unrolled: 1-line block ×4, first 2 shown]
	v_fmac_f16_e64 v74, 0xb8b4, v137
	v_fmac_f16_e32 v82, 0x34f2, v73
	v_fmac_f16_e32 v89, 0x38b4, v93
	;; [unrolled: 1-line block ×6, first 2 shown]
	v_add_f16_e32 v84, v117, v125
	v_mul_lo_u16 v39, v51, 10
	v_pk_add_f16 v45, v143, v45
	v_fmac_f16_e32 v53, 0x38b4, v9
	v_fmac_f16_e32 v17, 0xb8b4, v9
	v_fma_f16 v9, 0xbb9c, v11, v147
	v_fmac_f16_e64 v132, 0x34f2, v86
	v_fmac_f16_e32 v109, 0xb8b4, v105
	v_fmac_f16_e32 v85, 0x38b4, v105
	;; [unrolled: 1-line block ×3, first 2 shown]
	v_fmac_f16_e64 v96, 0x38b4, v134
	v_fmac_f16_e64 v138, 0x38b4, v123
	v_fmac_f16_e32 v78, 0x34f2, v126
	v_fmac_f16_e64 v128, 0x38b4, v137
	v_fmac_f16_e32 v75, 0xb8b4, v127
	v_fmac_f16_e64 v139, 0x38b4, v127
	v_fma_f16 v131, 0xbb9c, v28, v116
	v_fmac_f16_e32 v116, 0x3b9c, v28
	v_fmac_f16_e64 v133, 0xb8b4, v28
	v_fmac_f16_e32 v120, 0x38b4, v28
	v_fmac_f16_e32 v100, 0x34f2, v19
	v_pk_add_f16 v19, v44, v47
	v_pk_add_f16 v28, v44, v47 neg_lo:[0,1] neg_hi:[0,1]
	v_fmac_f16_e32 v48, 0x34f2, v55
	v_fmac_f16_e32 v80, 0x34f2, v55
	;; [unrolled: 1-line block ×5, first 2 shown]
	v_mul_f16_e64 v29, 0x3a79, v130
	v_mul_f16_e64 v44, 0xb8b4, v130
	v_fmac_f16_e32 v74, 0x34f2, v110
	v_mul_f16_e32 v55, 0x3a79, v77
	v_mul_f16_e32 v73, 0xb8b4, v77
	v_fmac_f16_e64 v147, 0x3b9c, v11
	v_fmac_f16_e32 v106, 0x34f2, v126
	v_fmac_f16_e32 v89, 0x34f2, v90
	;; [unrolled: 1-line block ×4, first 2 shown]
	v_mul_f16_e32 v79, 0x3a79, v82
	v_fmac_f16_e64 v135, 0x34f2, v97
	v_fmac_f16_e64 v136, 0x34f2, v119
	v_fmac_f16_e32 v94, 0x34f2, v119
	v_fmac_f16_e64 v121, 0xb8b4, v134
	v_fmac_f16_e32 v122, 0x34f2, v102
	v_mul_f16_e32 v77, 0x34f2, v18
	v_mul_u32_u24_e32 v37, 0xcccd, v35
	v_mul_u32_u24_e32 v38, 0xcccd, v34
	v_sub_nc_u16 v39, v20, v39
	v_fmac_f16_e32 v9, 0xb8b4, v81
	v_pk_add_f16 v11, v7, v45
	v_pk_add_f16 v7, v7, v45 neg_lo:[0,1] neg_hi:[0,1]
	v_fmac_f16_e32 v109, 0x34f2, v84
	v_fmac_f16_e32 v85, 0x34f2, v84
	;; [unrolled: 1-line block ×3, first 2 shown]
	v_fmac_f16_e64 v138, 0x34f2, v102
	v_fmac_f16_e64 v128, 0x34f2, v110
	v_mul_f16_e64 v45, 0xbb9c, v132
	v_fmac_f16_e32 v75, 0x34f2, v118
	v_fmac_f16_e64 v139, 0x34f2, v118
	v_mul_f16_e32 v84, 0x3a79, v91
	v_mul_f16_e32 v90, 0xbb9c, v78
	v_fmac_f16_e32 v29, 0x38b4, v87
	v_fmac_f16_e32 v44, 0x3a79, v87
	v_fmac_f16_e32 v55, 0x38b4, v74
	v_fmac_f16_e32 v73, 0x3a79, v74
	v_mul_f16_e32 v74, 0x3b9c, v101
	v_mul_f16_e32 v87, 0x34f2, v92
	v_add_f16_e64 v108, v141, v108
	v_fmac_f16_e64 v147, 0x38b4, v81
	v_fmac_f16_e64 v131, 0xb8b4, v115
	v_mul_f16_e32 v86, 0x34f2, v106
	v_mul_f16_e32 v93, 0x3a79, v100
	v_fma_f16 v79, v89, 0x38b4, -v79
	v_mul_f16_e32 v89, 0x3a79, v89
	v_pk_add_f16 v12, v8, v46
	v_pk_add_f16 v8, v8, v46 neg_lo:[0,1] neg_hi:[0,1]
	v_fmac_f16_e32 v121, 0x34f2, v95
	v_mul_f16_e64 v46, 0x3a79, v135
	v_mul_f16_e64 v47, 0xb8b4, v135
	v_mul_f16_e32 v81, 0x34f2, v94
	v_mul_f16_e64 v83, 0xbb9c, v136
	v_fma_f16 v77, v92, 0x3b9c, -v77
	v_mul_f16_e32 v92, 0x3b9c, v122
	v_lshrrev_b32_e32 v37, 19, v37
	v_lshrrev_b32_e32 v38, 19, v38
	v_and_b32_e32 v39, 0xff, v39
	v_fmac_f16_e32 v13, 0x34f2, v98
	v_fmac_f16_e32 v76, 0x34f2, v98
	;; [unrolled: 1-line block ×5, first 2 shown]
	v_mul_f16_e64 v95, 0x34f2, v138
	v_fma_f16 v84, v96, 0x38b4, -v84
	v_mul_f16_e32 v96, 0x3a79, v96
	v_fmac_f16_e32 v90, 0x34f2, v75
	v_mul_f16_e32 v75, 0x3b9c, v75
	v_mul_f16_e64 v97, 0x34f2, v139
	v_mul_f16_e64 v98, 0x3a79, v128
	v_fmac_f16_e64 v74, 0x34f2, v132
	v_fma_f16 v18, v18, 0xbb9c, -v87
	v_fmac_f16_e32 v52, 0x34f2, v111
	v_fmac_f16_e32 v88, 0x34f2, v111
	;; [unrolled: 1-line block ×3, first 2 shown]
	v_fmac_f16_e64 v147, 0x34f2, v107
	v_fmac_f16_e64 v131, 0x34f2, v108
	v_fma_f16 v86, v139, 0x3b9c, -v86
	v_fma_f16 v93, v128, 0x38b4, -v93
	;; [unrolled: 1-line block ×3, first 2 shown]
	v_fmac_f16_e32 v14, 0x34f2, v99
	v_fmac_f16_e32 v16, 0x34f2, v99
	;; [unrolled: 1-line block ×5, first 2 shown]
	v_fma_f16 v81, v138, 0x3b9c, -v81
	v_fmac_f16_e64 v92, 0x34f2, v136
	v_mul_lo_u16 v43, v37, 10
	v_mul_lo_u16 v42, v38, 10
	v_mul_u32_u24_e32 v125, 5, v39
	v_fmac_f16_e32 v53, 0x34f2, v113
	v_fmac_f16_e32 v116, 0x34f2, v108
	v_fmac_f16_e64 v133, 0x34f2, v103
	v_fmac_f16_e32 v120, 0x34f2, v103
	v_add_f16_e32 v87, v49, v29
	v_add_f16_e32 v89, v9, v44
	v_sub_f16_e32 v9, v9, v44
	v_add_f16_e32 v44, v48, v45
	v_sub_f16_e32 v45, v48, v45
	v_fma_f16 v48, v94, 0xbb9c, -v95
	v_fma_f16 v91, v91, 0xb8b4, -v96
	v_fmac_f16_e32 v75, 0x34f2, v78
	v_fma_f16 v78, v106, 0xbb9c, -v97
	v_fma_f16 v96, v100, 0xb8b4, -v98
	v_sub_f16_e32 v29, v49, v29
	v_add_f16_e32 v49, v15, v77
	v_add_f16_e64 v99, v129, v74
	v_add_f16_e32 v100, v80, v18
	v_sub_f16_e32 v15, v15, v77
	v_add_f16_e64 v77, v142, v79
	v_add_f16_e32 v97, v52, v55
	v_sub_f16_e32 v52, v52, v55
	v_add_f16_e32 v55, v17, v86
	v_sub_f16_e32 v17, v17, v86
	v_add_f16_e32 v86, v88, v93
	v_sub_f16_e32 v88, v88, v93
	v_add_f16_e64 v93, v131, v73
	v_sub_f16_e64 v73, v131, v73
	v_sub_f16_e32 v18, v80, v18
	v_add_f16_e64 v80, v147, v82
	v_sub_f16_e64 v74, v129, v74
	v_sub_f16_e64 v79, v142, v79
	v_add_f16_e32 v94, v13, v46
	v_sub_f16_e32 v13, v13, v46
	v_add_f16_e32 v46, v16, v81
	v_sub_f16_e32 v16, v16, v81
	v_add_f16_e32 v81, v76, v84
	v_sub_f16_e32 v76, v76, v84
	v_add_f16_e32 v84, v109, v47
	v_sub_f16_e32 v47, v109, v47
	v_add_f16_e32 v95, v114, v83
	v_sub_f16_e32 v83, v114, v83
	v_sub_f16_e64 v82, v147, v82
	v_add_f16_e32 v101, v14, v92
	v_sub_f16_e32 v14, v14, v92
	v_sub_nc_u16 v43, v31, v43
	v_sub_nc_u16 v117, v71, v42
	v_lshlrev_b32_e32 v125, 2, v125
	v_add_f16_e64 v98, v133, v90
	v_sub_f16_e64 v90, v133, v90
	v_add_f16_e32 v92, v104, v48
	v_sub_f16_e32 v48, v104, v48
	v_add_f16_e32 v102, v85, v91
	v_sub_f16_e32 v85, v85, v91
	;; [unrolled: 2-line block ×5, first 2 shown]
	v_pack_b32_f16 v87, v87, v89
	v_pack_b32_f16 v49, v49, v100
	;; [unrolled: 1-line block ×11, first 2 shown]
	v_add_nc_u32_e32 v124, 0x1e08, v0
	v_add_nc_u32_e32 v54, 0x1e10, v0
	;; [unrolled: 1-line block ×4, first 2 shown]
	v_and_b32_e32 v42, 0xffff, v43
	v_and_b32_e32 v43, 0xffff, v117
	v_mul_u32_u24_e32 v117, 5, v40
	global_inv scope:SCOPE_SE
	v_pack_b32_f16 v29, v94, v84
	v_pack_b32_f16 v47, v97, v93
	;; [unrolled: 1-line block ×13, first 2 shown]
	ds_store_2addr_b32 v0, v11, v87 offset1:1
	ds_store_2addr_b32 v0, v44, v49 offset0:2 offset1:3
	ds_store_2addr_b32 v0, v73, v7 offset0:4 offset1:5
	;; [unrolled: 1-line block ×4, first 2 shown]
	ds_store_2addr_b32 v1, v12, v29 offset1:1
	ds_store_2addr_b32 v2, v46, v18 offset1:1
	;; [unrolled: 1-line block ×10, first 2 shown]
	global_wb scope:SCOPE_SE
	s_wait_dscnt 0x0
	s_barrier_signal -1
	s_barrier_wait -1
	global_inv scope:SCOPE_SE
	global_load_b128 v[12:15], v125, s[4:5]
	v_mul_lo_u16 v0, v41, 10
	v_mul_u32_u24_e32 v10, 5, v42
	v_lshlrev_b32_e32 v117, 2, v117
	v_mul_u32_u24_e32 v1, 5, v43
	v_mul_lo_u16 v52, 0x89, v50
	v_sub_nc_u16 v16, v32, v0
	v_lshlrev_b32_e32 v28, 2, v10
	global_load_b128 v[8:11], v117, s[4:5]
	v_lshlrev_b32_e32 v29, 2, v1
	s_clause 0x1
	global_load_b128 v[4:7], v28, s[4:5]
	global_load_b128 v[0:3], v29, s[4:5]
	v_and_b32_e32 v49, 0xffff, v16
	v_and_b32_e32 v50, 0xffff, v51
	;; [unrolled: 1-line block ×3, first 2 shown]
	v_mul_u32_u24_e32 v37, 0xf0, v37
	v_mul_u32_u24_e32 v38, 0xf0, v38
	;; [unrolled: 1-line block ×5, first 2 shown]
	v_lshlrev_b32_e32 v39, 2, v39
	v_mul_u32_u24_e32 v36, 0xf0, v36
	v_lshlrev_b32_e32 v48, 2, v16
	s_clause 0x5
	global_load_b128 v[16:19], v48, s[4:5]
	global_load_b32 v47, v125, s[4:5] offset:16
	global_load_b32 v46, v117, s[4:5] offset:16
	;; [unrolled: 1-line block ×5, first 2 shown]
	v_lshlrev_b32_e32 v40, 2, v40
	v_lshlrev_b32_e32 v41, 2, v42
	;; [unrolled: 1-line block ×3, first 2 shown]
	v_add3_u32 v90, 0, v50, v39
	v_lshlrev_b32_e32 v43, 2, v49
	v_add3_u32 v91, 0, v36, v40
	v_add3_u32 v92, 0, v37, v41
	;; [unrolled: 1-line block ×3, first 2 shown]
	ds_load_2addr_b32 v[36:37], v66 offset0:64 offset1:160
	ds_load_2addr_b32 v[38:39], v61 offset0:64 offset1:160
	;; [unrolled: 1-line block ×3, first 2 shown]
	v_mov_b32_e32 v29, v21
	v_lshrrev_b16 v73, 13, v52
	v_add3_u32 v94, 0, v51, v43
	ds_load_2addr_b32 v[42:43], v67 offset0:128 offset1:224
	ds_load_2addr_b32 v[49:50], v58 offset0:64 offset1:160
	ds_load_2addr_b32 v[51:52], v70 offset1:96
	ds_load_2addr_b32 v[53:54], v60 offset0:128 offset1:224
	ds_load_2addr_b32 v[74:75], v69 offset0:64 offset1:160
	ds_load_2addr_b32 v[76:77], v59 offset1:96
	ds_load_2addr_b32 v[78:79], v64 offset0:64 offset1:160
	ds_load_2addr_b32 v[80:81], v62 offset1:96
	ds_load_2addr_b32 v[82:83], v65 offset0:64 offset1:160
	ds_load_2addr_b32 v[84:85], v68 offset0:128 offset1:224
	ds_load_2addr_b32 v[86:87], v56 offset1:96
	ds_load_2addr_b32 v[88:89], v57 offset0:64 offset1:160
	v_subrev_nc_u32_e32 v28, 60, v20
	v_mul_u32_u24_e32 v55, 0x8889, v35
	global_wb scope:SCOPE_SE
	s_wait_loadcnt_dscnt 0x0
	s_barrier_signal -1
	s_barrier_wait -1
	s_wait_alu 0xf1ff
	v_cndmask_b32_e64 v72, v28, v20, s0
	global_inv scope:SCOPE_SE
	v_mul_lo_u16 v35, v73, 60
	v_lshrrev_b32_e32 v100, 16, v43
	v_lshrrev_b32_e32 v101, 16, v49
	;; [unrolled: 1-line block ×30, first 2 shown]
	v_mul_i32_i24_e32 v28, 5, v72
	s_delay_alu instid0(VALU_DEP_1) | instskip(NEXT) | instid1(VALU_DEP_1)
	v_lshlrev_b64_e32 v[28:29], 2, v[28:29]
	v_add_co_u32 v28, s0, s4, v28
	s_wait_alu 0xf1ff
	s_delay_alu instid0(VALU_DEP_2)
	v_add_co_ci_u32_e64 v29, s0, s5, v29, s0
	v_cmp_lt_u32_e64 s0, 59, v20
	v_lshrrev_b32_e32 v126, 16, v13
	v_lshrrev_b32_e32 v125, 16, v12
	;; [unrolled: 1-line block ×4, first 2 shown]
	s_delay_alu instid0(VALU_DEP_4) | instskip(NEXT) | instid1(VALU_DEP_4)
	v_mul_f16_e64 v141, v36, v126
	v_mul_f16_e64 v138, v125, v43
	v_mul_f16_e32 v125, v125, v100
	v_lshrrev_b32_e32 v129, 16, v9
	v_lshrrev_b32_e32 v131, 16, v8
	v_mul_f16_e32 v126, v95, v126
	v_fmac_f16_e64 v141, v95, v13
	v_mul_f16_e64 v95, v40, v128
	v_mul_f16_e64 v128, v97, v128
	v_lshrrev_b32_e32 v130, 16, v11
	v_lshrrev_b32_e32 v132, 16, v10
	;; [unrolled: 1-line block ×3, first 2 shown]
	v_fmac_f16_e64 v138, v12, v100
	v_mul_f16_e32 v100, v39, v127
	v_mul_f16_e32 v127, v96, v127
	v_fmac_f16_e32 v95, v97, v15
	v_fma_f16 v12, v12, v43, -v125
	v_fma_f16 v13, v36, v13, -v126
	;; [unrolled: 1-line block ×3, first 2 shown]
	v_mul_f16_e64 v43, v37, v129
	v_mul_f16_e64 v126, v49, v131
	;; [unrolled: 1-line block ×3, first 2 shown]
	v_lshrrev_b32_e32 v134, 16, v6
	v_lshrrev_b32_e32 v135, 16, v5
	;; [unrolled: 1-line block ×4, first 2 shown]
	v_fmac_f16_e32 v100, v96, v14
	v_fma_f16 v14, v39, v14, -v127
	v_mul_f16_e64 v36, v98, v129
	v_mul_f16_e64 v125, v99, v130
	v_mul_f16_e64 v127, v41, v130
	v_mul_f16_e64 v129, v51, v132
	v_fmac_f16_e32 v126, v101, v8
	v_fmac_f16_e32 v43, v98, v9
	v_mul_f16_e64 v98, v102, v132
	v_fma_f16 v8, v49, v8, -v128
	v_mul_f16_e64 v49, v103, v133
	v_lshrrev_b32_e32 v139, 16, v3
	v_lshrrev_b32_e32 v140, 16, v0
	;; [unrolled: 1-line block ×6, first 2 shown]
	v_fma_f16 v36, v37, v9, -v36
	v_lshrrev_b32_e32 v37, 16, v19
	v_fma_f16 v41, v41, v11, -v125
	v_lshrrev_b32_e32 v125, 16, v47
	v_lshrrev_b32_e32 v101, 16, v46
	;; [unrolled: 1-line block ×3, first 2 shown]
	v_fmac_f16_e64 v129, v102, v10
	v_lshrrev_b32_e32 v102, 16, v44
	v_fmac_f16_e32 v127, v99, v11
	v_lshrrev_b32_e32 v11, 16, v48
	v_fma_f16 v10, v51, v10, -v98
	v_mul_f16_e64 v51, v50, v133
	v_mul_f16_e64 v98, v104, v134
	;; [unrolled: 1-line block ×7, first 2 shown]
	v_fma_f16 v49, v50, v4, -v49
	v_mul_f16_e64 v50, v108, v137
	v_mul_f16_e64 v133, v54, v137
	;; [unrolled: 1-line block ×3, first 2 shown]
	v_fma_f16 v52, v52, v6, -v98
	v_mul_f16_e64 v98, v76, v140
	v_mul_f16_e64 v135, v75, v139
	;; [unrolled: 1-line block ×4, first 2 shown]
	v_mul_f16_e32 v96, v109, v96
	v_fmac_f16_e32 v51, v103, v4
	v_mul_f16_e32 v4, v111, v97
	v_mul_f16_e32 v97, v77, v97
	v_fmac_f16_e64 v128, v105, v5
	v_mul_f16_e32 v103, v112, v39
	v_mul_f16_e32 v39, v38, v39
	v_fmac_f16_e32 v99, v104, v6
	v_mul_f16_e32 v6, v113, v40
	v_mul_f16_e32 v40, v79, v40
	v_fmac_f16_e64 v131, v106, v7
	v_mul_f16_e32 v104, v80, v37
	v_mul_f16_e32 v37, v114, v37
	v_fma_f16 v5, v53, v5, -v130
	v_fma_f16 v7, v74, v7, -v132
	v_mul_f16_e32 v53, v115, v125
	v_mul_f16_e32 v74, v81, v125
	v_mul_f16_e32 v105, v82, v101
	v_mul_f16_e32 v106, v117, v9
	v_mul_f16_e32 v9, v83, v9
	v_mul_f16_e32 v125, v84, v102
	v_fma_f16 v50, v54, v1, -v50
	v_mul_f16_e32 v54, v119, v11
	v_mul_f16_e32 v11, v85, v11
	;; [unrolled: 1-line block ×4, first 2 shown]
	v_fma_f16 v75, v75, v3, -v134
	v_fmac_f16_e32 v98, v107, v0
	v_fmac_f16_e64 v133, v108, v1
	v_fmac_f16_e64 v137, v109, v2
	;; [unrolled: 1-line block ×3, first 2 shown]
	v_fma_f16 v0, v76, v0, -v136
	v_fma_f16 v1, v78, v2, -v96
	;; [unrolled: 1-line block ×5, first 2 shown]
	v_fmac_f16_e32 v97, v111, v16
	v_fmac_f16_e32 v39, v112, v17
	;; [unrolled: 1-line block ×4, first 2 shown]
	v_fma_f16 v6, v80, v19, -v37
	v_fma_f16 v16, v81, v47, -v53
	v_fmac_f16_e32 v74, v115, v47
	v_fmac_f16_e32 v105, v116, v46
	;; [unrolled: 1-line block ×4, first 2 shown]
	v_fma_f16 v37, v85, v48, -v54
	v_fmac_f16_e32 v11, v119, v48
	v_fma_f16 v17, v82, v46, -v101
	v_fma_f16 v18, v83, v45, -v106
	v_fma_f16 v19, v84, v44, -v102
	v_add_f16_e32 v38, v86, v13
	v_add_f16_e32 v44, v13, v15
	v_add_f16_e64 v45, v120, v141
	v_add_f16_e64 v46, v141, v95
	v_add_f16_e32 v53, v14, v16
	v_add_f16_e64 v54, v138, v100
	v_add_f16_e32 v76, v100, v74
	v_sub_f16_e32 v77, v100, v74
	v_add_f16_e64 v84, v126, v129
	v_add_f16_e64 v85, v129, v105
	v_sub_f16_e64 v96, v129, v105
	v_add_f16_e32 v100, v88, v5
	v_add_f16_e64 v102, v122, v128
	v_add_f16_e64 v103, v128, v131
	v_sub_f16_e64 v106, v128, v131
	v_add_f16_e32 v107, v49, v52
	v_add_f16_e32 v109, v51, v99
	v_add_f16_e32 v110, v99, v9
	v_add_f16_e32 v111, v89, v50
	v_add_f16_e64 v113, v123, v133
	v_add_f16_e64 v114, v133, v135
	v_sub_f16_e64 v115, v133, v135
	v_add_f16_e32 v116, v0, v1
	v_add_f16_e64 v118, v98, v137
	v_add_f16_e64 v119, v137, v125
	v_sub_f16_e64 v128, v137, v125
	v_add_f16_e64 v129, v42, v3
	v_add_f16_e64 v130, v3, v6
	;; [unrolled: 1-line block ×8, first 2 shown]
	v_add_f16_e32 v48, v12, v14
	v_add_f16_e32 v78, v87, v36
	v_add_f16_e32 v80, v121, v43
	v_add_f16_e32 v82, v8, v10
	v_add_f16_e32 v79, v36, v41
	v_add_f16_e32 v81, v43, v127
	v_add_f16_e32 v83, v10, v17
	v_sub_f16_e32 v13, v13, v15
	v_sub_f16_e64 v47, v141, v95
	v_sub_f16_e32 v14, v14, v16
	v_add_f16_e32 v101, v5, v7
	v_sub_f16_e32 v5, v5, v7
	v_add_f16_e32 v108, v52, v18
	v_sub_f16_e32 v52, v52, v18
	v_sub_f16_e32 v99, v99, v9
	v_add_f16_e32 v112, v50, v75
	v_sub_f16_e32 v50, v50, v75
	v_add_f16_e32 v117, v1, v19
	v_sub_f16_e32 v1, v1, v19
	v_sub_f16_e32 v3, v3, v6
	;; [unrolled: 1-line block ×5, first 2 shown]
	v_add_f16_e32 v15, v38, v15
	v_add_f16_e32 v38, v45, v95
	v_fmac_f16_e32 v120, -0.5, v46
	v_fmac_f16_e32 v12, -0.5, v53
	v_add_f16_e32 v45, v54, v74
	v_fmac_f16_e64 v138, -0.5, v76
	v_add_f16_e32 v7, v100, v7
	v_add_f16_e64 v53, v102, v131
	v_add_f16_e32 v18, v107, v18
	v_add_f16_e32 v9, v109, v9
	v_fmac_f16_e32 v51, -0.5, v110
	v_add_f16_e32 v54, v111, v75
	v_add_f16_e64 v74, v113, v135
	v_add_f16_e32 v19, v116, v19
	v_add_f16_e32 v75, v118, v125
	v_fmac_f16_e32 v98, -0.5, v119
	v_add_f16_e64 v6, v129, v6
	v_fmac_f16_e64 v42, -0.5, v130
	v_add_f16_e64 v76, v132, v104
	v_fmac_f16_e64 v124, -0.5, v133
	v_add_f16_e64 v37, v134, v37
	v_fma_f16 v44, -0.5, v44, v86
	v_fmac_f16_e64 v2, -0.5, v136
	v_add_f16_e64 v11, v137, v11
	v_fmac_f16_e64 v97, -0.5, v139
	v_sub_f16_e32 v36, v36, v41
	v_sub_f16_e32 v10, v10, v17
	v_add_f16_e32 v16, v48, v16
	v_add_f16_e32 v41, v78, v41
	;; [unrolled: 1-line block ×5, first 2 shown]
	v_fmac_f16_e32 v126, -0.5, v85
	v_sub_f16_e32 v43, v43, v127
	v_fmac_f16_e32 v87, -0.5, v79
	v_fmac_f16_e32 v121, -0.5, v81
	;; [unrolled: 1-line block ×7, first 2 shown]
	v_fmamk_f16 v79, v47, 0x3aee, v44
	v_fmac_f16_e32 v44, 0xbaee, v47
	v_fmamk_f16 v47, v13, 0xbaee, v120
	v_fmac_f16_e32 v120, 0x3aee, v13
	;; [unrolled: 2-line block ×3, first 2 shown]
	v_fma_f16 v77, 0xbaee, v14, v138
	v_fmamk_f16 v82, v52, 0xbaee, v51
	v_fmac_f16_e32 v51, 0x3aee, v52
	v_add_f16_e32 v52, v7, v18
	v_sub_f16_e32 v7, v7, v18
	v_add_f16_e32 v18, v53, v9
	v_sub_f16_e32 v9, v53, v9
	v_fmamk_f16 v84, v1, 0xbaee, v98
	v_fmac_f16_e32 v98, 0x3aee, v1
	v_add_f16_e32 v1, v54, v19
	v_sub_f16_e32 v19, v54, v19
	v_add_f16_e32 v54, v74, v75
	v_sub_f16_e32 v74, v74, v75
	v_fmamk_f16 v75, v39, 0x3aee, v42
	v_fmac_f16_e32 v42, 0xbaee, v39
	v_fmamk_f16 v39, v3, 0xbaee, v124
	v_fmac_f16_e32 v124, 0x3aee, v3
	v_fmamk_f16 v3, v40, 0x3aee, v2
	v_fmac_f16_e32 v2, 0xbaee, v40
	v_fmamk_f16 v40, v4, 0xbaee, v97
	v_fmac_f16_e32 v97, 0x3aee, v4
	v_add_f16_e32 v4, v6, v37
	v_sub_f16_e32 v6, v6, v37
	v_add_f16_e32 v37, v76, v11
	v_fmac_f16_e64 v138, 0x3aee, v14
	v_add_f16_e32 v14, v15, v16
	v_sub_f16_e32 v15, v15, v16
	v_add_f16_e32 v16, v38, v45
	v_fmamk_f16 v80, v10, 0xbaee, v126
	v_fmac_f16_e32 v126, 0x3aee, v10
	v_add_f16_e32 v10, v41, v17
	v_sub_f16_e32 v17, v41, v17
	v_add_f16_e32 v41, v46, v48
	v_sub_f16_e32 v46, v46, v48
	v_sub_f16_e32 v11, v76, v11
	;; [unrolled: 1-line block ×3, first 2 shown]
	v_fmamk_f16 v45, v43, 0x3aee, v87
	v_fmac_f16_e32 v87, 0xbaee, v43
	v_fmamk_f16 v43, v36, 0xbaee, v121
	v_fmac_f16_e32 v121, 0x3aee, v36
	;; [unrolled: 2-line block ×6, first 2 shown]
	v_fma_f16 v50, 0x3aee, v128, v0
	v_fmac_f16_e64 v0, 0xbaee, v128
	v_pack_b32_f16 v7, v7, v9
	v_mul_f16_e32 v9, 0x3aee, v77
	v_pack_b32_f16 v4, v4, v37
	v_mul_f16_e32 v37, 0xbaee, v13
	v_pack_b32_f16 v14, v14, v16
	v_pack_b32_f16 v16, v17, v46
	;; [unrolled: 1-line block ×4, first 2 shown]
	v_mul_f16_e32 v19, -0.5, v12
	v_pack_b32_f16 v6, v6, v11
	v_mul_f16_e64 v11, -0.5, v138
	v_pack_b32_f16 v15, v15, v38
	v_mul_f16_e32 v38, 0x3aee, v80
	v_mul_f16_e32 v46, 0xbaee, v36
	v_pack_b32_f16 v10, v10, v41
	v_mul_f16_e32 v41, -0.5, v8
	v_mul_f16_e32 v52, -0.5, v126
	v_fmac_f16_e32 v89, -0.5, v112
	v_fma_f16 v78, -0.5, v101, v88
	v_pack_b32_f16 v1, v1, v54
	v_mul_f16_e32 v54, 0x3aee, v82
	v_mul_f16_e32 v74, -0.5, v49
	v_mul_f16_e32 v76, 0xbaee, v5
	v_mul_f16_e32 v85, -0.5, v51
	;; [unrolled: 2-line block ×6, first 2 shown]
	v_fmac_f16_e32 v9, 0.5, v13
	v_fmac_f16_e32 v37, 0.5, v77
	v_fmac_f16_e64 v19, 0x3aee, v138
	v_fmac_f16_e32 v11, 0xbaee, v12
	v_fmac_f16_e32 v38, 0.5, v36
	v_fmac_f16_e32 v46, 0.5, v80
	v_fmac_f16_e32 v41, 0x3aee, v126
	v_fmac_f16_e32 v52, 0xbaee, v8
	v_fmamk_f16 v48, v106, 0x3aee, v78
	v_fmac_f16_e32 v78, 0xbaee, v106
	v_fmamk_f16 v53, v115, 0x3aee, v89
	v_fmac_f16_e32 v89, 0xbaee, v115
	v_fmac_f16_e32 v54, 0.5, v5
	v_fmac_f16_e32 v74, 0x3aee, v51
	v_fmac_f16_e32 v76, 0.5, v82
	;; [unrolled: 2-line block ×6, first 2 shown]
	v_fmac_f16_e32 v102, 0xbaee, v2
	v_add_f16_e32 v0, v79, v9
	v_add_f16_e32 v5, v47, v37
	;; [unrolled: 1-line block ×3, first 2 shown]
	v_sub_f16_e32 v3, v79, v9
	v_add_f16_e32 v9, v120, v11
	v_sub_f16_e32 v8, v44, v19
	v_sub_f16_e32 v12, v47, v37
	;; [unrolled: 1-line block ×3, first 2 shown]
	v_add_f16_e32 v13, v45, v38
	v_add_f16_e32 v37, v43, v46
	;; [unrolled: 1-line block ×4, first 2 shown]
	v_sub_f16_e32 v36, v87, v41
	v_sub_f16_e32 v38, v45, v38
	;; [unrolled: 1-line block ×4, first 2 shown]
	v_add_f16_e32 v44, v48, v54
	v_add_f16_e32 v45, v78, v74
	;; [unrolled: 1-line block ×3, first 2 shown]
	v_sub_f16_e32 v47, v48, v54
	v_add_f16_e32 v48, v122, v85
	v_sub_f16_e32 v49, v78, v74
	v_sub_f16_e32 v50, v81, v76
	;; [unrolled: 1-line block ×3, first 2 shown]
	v_add_f16_e32 v52, v53, v86
	v_add_f16_e32 v54, v89, v88
	;; [unrolled: 1-line block ×3, first 2 shown]
	v_sub_f16_e32 v53, v53, v86
	v_add_f16_e32 v76, v123, v96
	v_sub_f16_e32 v77, v89, v88
	v_sub_f16_e32 v78, v83, v95
	v_sub_f16_e32 v79, v123, v96
	v_add_f16_e32 v80, v75, v99
	v_add_f16_e32 v81, v42, v100
	;; [unrolled: 1-line block ×4, first 2 shown]
	v_sub_f16_e32 v75, v75, v99
	v_sub_f16_e32 v42, v42, v100
	;; [unrolled: 1-line block ×4, first 2 shown]
	v_pack_b32_f16 v0, v0, v5
	v_pack_b32_f16 v2, v2, v9
	;; [unrolled: 1-line block ×20, first 2 shown]
	ds_store_2addr_b32 v90, v14, v0 offset1:10
	ds_store_2addr_b32 v90, v2, v15 offset0:20 offset1:30
	ds_store_2addr_b32 v90, v3, v5 offset0:40 offset1:50
	ds_store_2addr_b32 v91, v10, v8 offset1:10
	ds_store_2addr_b32 v91, v9, v16 offset0:20 offset1:30
	ds_store_2addr_b32 v91, v11, v12 offset0:40 offset1:50
	;; [unrolled: 3-line block ×5, first 2 shown]
	v_lshrrev_b32_e32 v74, 21, v55
	v_mul_u32_u24_e32 v0, 0x8889, v34
	v_sub_nc_u16 v2, v30, v35
	global_wb scope:SCOPE_SE
	s_wait_dscnt 0x0
	s_barrier_signal -1
	v_mul_lo_u16 v1, v74, 60
	v_lshrrev_b32_e32 v75, 21, v0
	v_mul_u32_u24_e32 v0, 0x8889, v33
	v_and_b32_e32 v80, 0xff, v2
	s_barrier_wait -1
	v_sub_nc_u16 v1, v31, v1
	v_mul_lo_u16 v3, v75, 60
	v_lshrrev_b32_e32 v76, 21, v0
	global_inv scope:SCOPE_SE
	global_load_b128 v[16:19], v[28:29], off offset:200
	v_and_b32_e32 v79, 0xffff, v1
	v_sub_nc_u16 v0, v71, v3
	v_mul_lo_u16 v1, v76, 60
	v_mul_u32_u24_e32 v2, 5, v80
	s_delay_alu instid0(VALU_DEP_4) | instskip(NEXT) | instid1(VALU_DEP_4)
	v_mul_u32_u24_e32 v3, 5, v79
	v_and_b32_e32 v78, 0xffff, v0
	s_delay_alu instid0(VALU_DEP_4) | instskip(NEXT) | instid1(VALU_DEP_4)
	v_sub_nc_u16 v0, v32, v1
	v_lshlrev_b32_e32 v1, 2, v2
	s_delay_alu instid0(VALU_DEP_4) | instskip(NEXT) | instid1(VALU_DEP_4)
	v_lshlrev_b32_e32 v2, 2, v3
	v_mul_u32_u24_e32 v3, 5, v78
	s_delay_alu instid0(VALU_DEP_4)
	v_and_b32_e32 v77, 0xffff, v0
	s_clause 0x1
	global_load_b128 v[12:15], v1, s[4:5] offset:200
	global_load_b128 v[8:11], v2, s[4:5] offset:200
	v_lshlrev_b32_e32 v30, 2, v3
	v_mul_u32_u24_e32 v0, 5, v77
	global_load_b128 v[4:7], v30, s[4:5] offset:200
	v_lshlrev_b32_e32 v31, 2, v0
	s_clause 0x5
	global_load_b32 v84, v1, s[4:5] offset:216
	global_load_b32 v83, v2, s[4:5] offset:216
	global_load_b128 v[0:3], v31, s[4:5] offset:200
	global_load_b32 v82, v[28:29], off offset:216
	global_load_b32 v81, v30, s[4:5] offset:216
	global_load_b32 v85, v31, s[4:5] offset:216
	ds_load_2addr_b32 v[50:51], v63 offset0:128 offset1:224
	ds_load_2addr_b32 v[52:53], v66 offset0:64 offset1:160
	;; [unrolled: 1-line block ×5, first 2 shown]
	ds_load_2addr_b32 v[46:47], v70 offset1:96
	ds_load_2addr_b32 v[42:43], v60 offset0:128 offset1:224
	ds_load_2addr_b32 v[44:45], v69 offset0:64 offset1:160
	ds_load_2addr_b32 v[34:35], v62 offset1:96
	ds_load_2addr_b32 v[38:39], v59 offset1:96
	ds_load_2addr_b32 v[36:37], v64 offset0:64 offset1:160
	ds_load_2addr_b32 v[40:41], v65 offset0:64 offset1:160
	;; [unrolled: 1-line block ×3, first 2 shown]
	ds_load_2addr_b32 v[30:31], v56 offset1:96
	ds_load_2addr_b32 v[87:88], v57 offset0:64 offset1:160
	global_wb scope:SCOPE_SE
	s_wait_loadcnt_dscnt 0x0
	s_barrier_signal -1
	s_barrier_wait -1
	global_inv scope:SCOPE_SE
	v_lshrrev_b32_e32 v89, 16, v50
	v_lshrrev_b32_e32 v90, 16, v53
	;; [unrolled: 1-line block ×34, first 2 shown]
	s_delay_alu instid0(VALU_DEP_4) | instskip(NEXT) | instid1(VALU_DEP_4)
	v_mul_f16_e64 v138, v118, v29
	v_mul_f16_e64 v141, v119, v52
	v_mul_f16_e32 v118, v118, v92
	v_mul_f16_e32 v119, v119, v93
	s_delay_alu instid0(VALU_DEP_4)
	v_fmac_f16_e64 v138, v16, v92
	v_mul_f16_e32 v92, v120, v33
	v_mul_f16_e32 v120, v120, v94
	v_fmac_f16_e64 v141, v17, v93
	v_lshrrev_b32_e32 v122, 16, v13
	v_lshrrev_b32_e32 v123, 16, v15
	;; [unrolled: 1-line block ×5, first 2 shown]
	v_mul_f16_e32 v93, v50, v121
	v_fmac_f16_e32 v92, v18, v94
	v_mul_f16_e32 v121, v89, v121
	v_fma_f16 v18, v18, v33, -v120
	v_mul_f16_e32 v33, v90, v122
	v_lshrrev_b32_e32 v127, 16, v10
	v_lshrrev_b32_e32 v129, 16, v11
	;; [unrolled: 1-line block ×8, first 2 shown]
	v_fmac_f16_e32 v93, v89, v19
	v_fma_f16 v16, v16, v29, -v118
	v_fma_f16 v17, v17, v52, -v119
	;; [unrolled: 1-line block ×3, first 2 shown]
	v_lshrrev_b32_e32 v29, 16, v85
	v_mul_f16_e32 v50, v53, v122
	v_mul_f16_e32 v52, v91, v123
	v_mul_f16_e32 v118, v48, v124
	v_mul_f16_e32 v119, v51, v123
	v_mul_f16_e32 v120, v95, v124
	v_fma_f16 v33, v53, v13, -v33
	v_mul_f16_e32 v53, v46, v125
	v_mul_f16_e32 v121, v96, v125
	v_mul_f16_e32 v123, v49, v126
	v_lshrrev_b32_e32 v128, 16, v9
	v_lshrrev_b32_e32 v132, 16, v4
	;; [unrolled: 1-line block ×6, first 2 shown]
	v_mul_f16_e32 v122, v97, v126
	v_fma_f16 v51, v51, v15, -v52
	v_mul_f16_e32 v52, v98, v127
	v_mul_f16_e32 v124, v47, v127
	v_fmac_f16_e32 v118, v95, v12
	v_mul_f16_e64 v95, v44, v129
	v_mul_f16_e64 v127, v100, v129
	v_fmac_f16_e32 v50, v90, v13
	v_mul_f16_e64 v13, v101, v130
	v_mul_f16_e64 v90, v43, v130
	v_fmac_f16_e32 v53, v96, v14
	v_mul_f16_e64 v96, v102, v131
	v_fmac_f16_e32 v119, v91, v15
	v_mul_f16_e64 v91, v45, v131
	v_fma_f16 v12, v48, v12, -v120
	v_fma_f16 v14, v46, v14, -v121
	v_mul_f16_e64 v46, v36, v133
	v_mul_f16_e64 v48, v104, v133
	v_mul_f16_e64 v120, v40, v134
	v_mul_f16_e64 v121, v105, v134
	v_mul_f16_e64 v131, v107, v136
	v_mul_f16_e64 v134, v109, v139
	v_fmac_f16_e32 v123, v97, v8
	v_mul_f16_e32 v97, v113, v29
	v_lshrrev_b32_e32 v89, 16, v81
	v_mul_f16_e64 v125, v42, v128
	v_mul_f16_e64 v126, v99, v128
	;; [unrolled: 1-line block ×7, first 2 shown]
	v_fma_f16 v49, v49, v8, -v122
	v_mul_f16_e64 v122, v108, v137
	v_mul_f16_e64 v133, v32, v137
	;; [unrolled: 1-line block ×3, first 2 shown]
	v_fma_f16 v47, v47, v10, -v52
	v_mul_f16_e64 v52, v35, v140
	v_mul_f16_e64 v136, v110, v140
	;; [unrolled: 1-line block ×3, first 2 shown]
	v_mul_f16_e32 v29, v55, v29
	v_fmac_f16_e32 v124, v98, v10
	v_fmac_f16_e32 v95, v100, v11
	v_fma_f16 v10, v44, v11, -v127
	v_fma_f16 v11, v43, v5, -v13
	v_fmac_f16_e32 v90, v101, v5
	v_fmac_f16_e32 v46, v104, v6
	v_fma_f16 v5, v36, v6, -v48
	v_fmac_f16_e32 v120, v105, v84
	v_fma_f16 v6, v40, v84, -v121
	v_fma_f16 v36, v39, v0, -v131
	;; [unrolled: 1-line block ×4, first 2 shown]
	v_mul_f16_e32 v94, v34, v94
	v_mul_f16_e32 v8, v54, v89
	;; [unrolled: 1-line block ×3, first 2 shown]
	v_fma_f16 v32, v32, v1, -v122
	v_fmac_f16_e32 v52, v110, v82
	v_fma_f16 v35, v35, v82, -v136
	v_fma_f16 v34, v34, v3, -v137
	v_fmac_f16_e64 v132, v107, v0
	v_fmac_f16_e32 v29, v113, v85
	v_fmac_f16_e64 v135, v109, v2
	v_add_f16_e32 v0, v37, v39
	v_add_f16_e32 v48, v14, v6
	;; [unrolled: 1-line block ×3, first 2 shown]
	v_fma_f16 v13, v45, v7, -v96
	v_fmac_f16_e32 v15, v103, v4
	v_fmac_f16_e32 v91, v102, v7
	v_fma_f16 v4, v38, v4, -v128
	v_fma_f16 v7, v41, v83, -v129
	v_fmac_f16_e64 v130, v106, v83
	v_fmac_f16_e32 v8, v112, v81
	v_fma_f16 v38, v54, v81, -v89
	v_fmac_f16_e64 v133, v108, v1
	v_fmac_f16_e32 v94, v111, v3
	v_add_f16_e32 v2, v36, v37
	v_sub_f16_e64 v3, v135, v29
	v_add_f16_e64 v40, v135, v29
	v_add_f16_e32 v41, v32, v34
	v_add_f16_e32 v44, v33, v51
	;; [unrolled: 1-line block ×5, first 2 shown]
	v_sub_f16_e32 v53, v53, v120
	v_sub_f16_e32 v14, v14, v6
	v_add_f16_e64 v103, v141, v93
	v_add_f16_e32 v106, v18, v35
	v_add_f16_e64 v108, v138, v92
	v_add_f16_e32 v109, v92, v52
	v_fmac_f16_e32 v36, -0.5, v0
	v_fmac_f16_e32 v12, -0.5, v48
	;; [unrolled: 1-line block ×3, first 2 shown]
	v_fmac_f16_e32 v125, v99, v9
	v_fma_f16 v9, v42, v9, -v126
	v_add_f16_e32 v1, v28, v32
	v_add_f16_e64 v42, v132, v135
	v_sub_f16_e32 v37, v37, v39
	v_sub_f16_e64 v43, v133, v94
	v_sub_f16_e32 v82, v50, v119
	v_add_f16_e32 v83, v17, v19
	v_add_f16_e32 v84, v30, v17
	v_sub_f16_e32 v17, v17, v19
	v_add_f16_e64 v102, v115, v141
	v_add_f16_e32 v105, v16, v18
	v_sub_f16_e32 v18, v18, v35
	v_sub_f16_e32 v92, v92, v52
	;; [unrolled: 1-line block ×3, first 2 shown]
	v_add_f16_e32 v110, v114, v50
	v_add_f16_e32 v50, v50, v119
	v_fmac_f16_e64 v132, -0.5, v40
	v_fmac_f16_e32 v28, -0.5, v41
	v_fmac_f16_e32 v31, -0.5, v44
	;; [unrolled: 1-line block ×4, first 2 shown]
	v_add_f16_e32 v40, v108, v52
	v_fmac_f16_e64 v138, -0.5, v109
	v_add_f16_e32 v41, v45, v51
	v_fmamk_f16 v51, v3, 0x3aee, v36
	v_fmac_f16_e32 v36, 0xbaee, v3
	v_fmamk_f16 v52, v53, 0x3aee, v12
	v_fmac_f16_e32 v12, 0xbaee, v53
	v_fmamk_f16 v53, v14, 0xbaee, v118
	v_add_f16_e32 v85, v11, v13
	v_add_f16_e32 v96, v5, v38
	;; [unrolled: 1-line block ×4, first 2 shown]
	v_sub_f16_e64 v104, v141, v93
	v_add_f16_e32 v0, v84, v19
	v_add_f16_e32 v19, v102, v93
	;; [unrolled: 1-line block ×4, first 2 shown]
	v_fmac_f16_e32 v114, -0.5, v50
	v_add_f16_e32 v6, v54, v6
	v_add_f16_e32 v48, v81, v120
	v_fma_f16 v3, 0xbaee, v37, v132
	v_fmac_f16_e64 v132, 0x3aee, v37
	v_fmamk_f16 v37, v43, 0x3aee, v28
	v_fmac_f16_e32 v28, 0xbaee, v43
	v_fmamk_f16 v43, v82, 0x3aee, v31
	v_fmac_f16_e32 v31, 0xbaee, v82
	v_fmac_f16_e32 v118, 0x3aee, v14
	v_fmamk_f16 v55, v17, 0xbaee, v115
	v_fmac_f16_e32 v115, 0x3aee, v17
	v_fmamk_f16 v17, v92, 0x3aee, v16
	v_fmac_f16_e32 v16, 0xbaee, v92
	v_fma_f16 v81, 0xbaee, v18, v138
	v_fmac_f16_e64 v138, 0x3aee, v18
	v_mul_f16_e32 v82, -0.5, v36
	v_mul_f16_e32 v84, -0.5, v12
	v_mul_f16_e32 v93, 0x3aee, v53
	v_add_f16_e32 v89, v88, v11
	v_add_f16_e32 v97, v4, v5
	;; [unrolled: 1-line block ×3, first 2 shown]
	v_sub_f16_e32 v46, v46, v8
	v_sub_f16_e32 v5, v5, v38
	v_add_f16_e32 v107, v87, v9
	v_fmac_f16_e32 v88, -0.5, v85
	v_fmac_f16_e32 v4, -0.5, v96
	;; [unrolled: 1-line block ×3, first 2 shown]
	v_fma_f16 v30, -0.5, v83, v30
	v_fma_f16 v44, -0.5, v101, v87
	v_add_f16_e32 v18, v0, v35
	v_sub_f16_e32 v0, v0, v35
	v_add_f16_e32 v35, v19, v40
	v_sub_f16_e32 v19, v19, v40
	v_fmamk_f16 v40, v33, 0xbaee, v114
	v_fmac_f16_e32 v114, 0x3aee, v33
	v_add_f16_e32 v33, v41, v6
	v_sub_f16_e32 v6, v41, v6
	v_add_f16_e32 v41, v45, v48
	v_sub_f16_e32 v45, v45, v48
	v_mul_f16_e32 v48, 0x3aee, v81
	v_mul_f16_e32 v85, -0.5, v16
	v_mul_f16_e64 v87, -0.5, v138
	v_mul_f16_e32 v96, 0xbaee, v52
	v_mul_f16_e32 v98, -0.5, v118
	v_fmac_f16_e32 v84, 0x3aee, v118
	v_fmac_f16_e64 v82, 0x3aee, v132
	v_fmac_f16_e32 v93, 0.5, v52
	v_add_f16_e32 v50, v107, v10
	v_fmamk_f16 v54, v46, 0x3aee, v4
	v_fmac_f16_e32 v4, 0xbaee, v46
	v_fmamk_f16 v46, v5, 0xbaee, v15
	v_fmac_f16_e32 v15, 0x3aee, v5
	;; [unrolled: 2-line block ×3, first 2 shown]
	v_mul_f16_e32 v83, 0xbaee, v17
	v_fmac_f16_e32 v48, 0.5, v17
	v_fmac_f16_e64 v85, 0x3aee, v138
	v_fmac_f16_e32 v87, 0xbaee, v16
	v_fmac_f16_e32 v96, 0.5, v53
	v_fmac_f16_e32 v98, 0xbaee, v12
	v_add_f16_e32 v12, v28, v82
	v_sub_f16_e32 v16, v28, v82
	v_add_f16_e32 v17, v31, v84
	v_sub_f16_e32 v28, v31, v84
	v_add_f16_e32 v84, v43, v93
	v_sub_f16_e32 v43, v43, v93
	v_sub_f16_e32 v9, v9, v10
	v_add_f16_e32 v10, v47, v7
	v_add_f16_e64 v93, v124, v130
	v_sub_f16_e32 v100, v90, v91
	v_add_f16_e32 v111, v125, v95
	v_mul_f16_e32 v92, -0.5, v4
	v_add_f16_e32 v53, v5, v48
	v_sub_f16_e32 v5, v5, v48
	v_add_f16_e32 v48, v30, v85
	v_sub_f16_e32 v30, v30, v85
	;; [unrolled: 2-line block ×3, first 2 shown]
	v_add_f16_e32 v96, v49, v47
	v_fmac_f16_e32 v49, -0.5, v10
	v_add_f16_e32 v10, v123, v124
	v_fmac_f16_e32 v123, -0.5, v93
	v_sub_f16_e64 v93, v124, v130
	v_add_f16_e32 v112, v117, v125
	v_fmac_f16_e32 v117, -0.5, v111
	v_fmamk_f16 v14, v100, 0x3aee, v88
	v_fmac_f16_e32 v88, 0xbaee, v100
	v_fmac_f16_e32 v83, 0.5, v81
	v_fmac_f16_e32 v92, 0x3aee, v15
	v_sub_f16_e32 v47, v47, v7
	v_fmamk_f16 v100, v93, 0x3aee, v49
	v_fmac_f16_e32 v49, 0xbaee, v93
	v_sub_f16_e32 v113, v125, v95
	v_add_f16_e32 v31, v88, v92
	v_sub_f16_e32 v52, v88, v92
	v_add_f16_e32 v81, v55, v83
	;; [unrolled: 2-line block ×4, first 2 shown]
	v_sub_f16_e32 v88, v114, v98
	v_fmamk_f16 v98, v9, 0xbaee, v117
	v_fmac_f16_e32 v117, 0x3aee, v9
	v_fmamk_f16 v9, v47, 0xbaee, v123
	v_fmac_f16_e32 v123, 0x3aee, v47
	v_add_f16_e32 v7, v96, v7
	v_mul_f16_e32 v96, -0.5, v49
	v_fmamk_f16 v92, v113, 0x3aee, v44
	v_fmac_f16_e32 v44, 0xbaee, v113
	v_mul_f16_e32 v93, 0xbaee, v100
	v_mul_f16_e32 v47, 0x3aee, v9
	v_fmac_f16_e32 v96, 0x3aee, v123
	v_sub_f16_e32 v11, v11, v13
	v_add_f16_e32 v13, v89, v13
	v_fmac_f16_e32 v93, 0.5, v9
	v_add_f16_e32 v9, v50, v7
	v_sub_f16_e32 v7, v50, v7
	v_add_f16_e32 v50, v44, v96
	v_sub_f16_e32 v44, v44, v96
	v_add_f16_e32 v96, v90, v91
	v_add_f16_e32 v90, v116, v90
	v_mul_f16_e32 v15, -0.5, v15
	v_add_f16_e32 v38, v97, v38
	v_add_f16_e32 v8, v99, v8
	v_fmac_f16_e32 v116, -0.5, v96
	v_add_f16_e32 v89, v90, v91
	v_mul_f16_e32 v91, 0xbaee, v54
	v_fmac_f16_e32 v15, 0xbaee, v4
	v_add_f16_e32 v4, v13, v38
	v_fmamk_f16 v90, v11, 0xbaee, v116
	v_fmac_f16_e32 v116, 0x3aee, v11
	v_mul_f16_e32 v11, 0x3aee, v46
	v_fmac_f16_e32 v91, 0.5, v46
	v_sub_f16_e32 v13, v13, v38
	v_sub_f16_e32 v32, v32, v34
	v_add_f16_e32 v1, v1, v34
	v_fmac_f16_e32 v11, 0.5, v54
	v_add_f16_e64 v54, v133, v94
	v_add_f16_e32 v46, v90, v91
	v_add_f16_e32 v2, v2, v39
	v_pack_b32_f16 v18, v18, v35
	v_add_f16_e32 v38, v14, v11
	v_sub_f16_e32 v11, v14, v11
	v_add_f16_e32 v14, v89, v8
	v_sub_f16_e32 v8, v89, v8
	v_sub_f16_e32 v89, v90, v91
	v_add_f16_e64 v91, v86, v133
	v_fmac_f16_e32 v86, -0.5, v54
	v_lshlrev_b32_e32 v54, 2, v72
	s_wait_alu 0xf1ff
	v_cndmask_b32_e64 v72, 0, 0x5a0, s0
	v_pack_b32_f16 v35, v53, v81
	v_add_f16_e32 v34, v91, v94
	v_fmamk_f16 v91, v32, 0xbaee, v86
	v_fmac_f16_e32 v86, 0x3aee, v32
	v_add3_u32 v32, 0, v72, v54
	v_mul_f16_e32 v39, 0x3aee, v3
	v_add_f16_e32 v29, v42, v29
	v_mul_f16_e64 v42, -0.5, v132
	v_mul_f16_e32 v101, -0.5, v123
	ds_store_2addr_b32 v32, v18, v35 offset1:60
	v_mul_f16_e32 v18, 0xbaee, v51
	v_fmac_f16_e32 v39, 0.5, v51
	v_fmac_f16_e32 v42, 0xbaee, v36
	v_pack_b32_f16 v48, v48, v82
	v_pack_b32_f16 v0, v0, v19
	v_fmac_f16_e32 v18, 0.5, v3
	v_add_f16_e32 v3, v1, v2
	v_sub_f16_e32 v1, v1, v2
	v_add_f16_e32 v2, v37, v39
	v_sub_f16_e32 v36, v37, v39
	v_and_b32_e32 v39, 0xffff, v73
	v_lshlrev_b32_e32 v73, 2, v80
	v_pack_b32_f16 v5, v5, v55
	v_pack_b32_f16 v19, v30, v83
	v_add_nc_u32_e32 v30, 0x200, v32
	v_mul_u32_u24_e32 v39, 0x5a0, v39
	v_pack_b32_f16 v33, v33, v41
	v_pack_b32_f16 v41, v84, v85
	v_add_f16_e32 v95, v112, v95
	v_add_f16_e64 v10, v10, v130
	v_add3_u32 v39, 0, v39, v73
	v_fmac_f16_e32 v47, 0.5, v100
	v_fmac_f16_e32 v101, 0xbaee, v49
	ds_store_2addr_b32 v32, v48, v0 offset0:120 offset1:180
	v_pack_b32_f16 v0, v17, v87
	ds_store_2addr_b32 v30, v5, v19 offset0:112 offset1:172
	ds_store_2addr_b32 v39, v33, v41 offset1:60
	v_mul_u32_u24_e32 v5, 0x5a0, v74
	v_lshlrev_b32_e32 v17, 2, v79
	v_pack_b32_f16 v6, v6, v45
	v_add_f16_e32 v49, v92, v47
	v_sub_f16_e32 v47, v92, v47
	v_add_f16_e32 v92, v95, v10
	v_sub_f16_e32 v10, v95, v10
	v_add_f16_e32 v95, v98, v93
	v_add_f16_e32 v96, v117, v101
	v_sub_f16_e32 v93, v98, v93
	v_sub_f16_e32 v98, v117, v101
	v_add3_u32 v5, 0, v5, v17
	v_mul_u32_u24_e32 v30, 0x5a0, v75
	v_lshlrev_b32_e32 v32, 2, v78
	ds_store_2addr_b32 v39, v0, v6 offset0:120 offset1:180
	v_pack_b32_f16 v0, v43, v40
	v_pack_b32_f16 v6, v28, v88
	v_add_nc_u32_e32 v19, 0x200, v39
	v_pack_b32_f16 v9, v9, v92
	v_pack_b32_f16 v17, v49, v95
	;; [unrolled: 1-line block ×6, first 2 shown]
	v_add_nc_u32_e32 v39, 0x200, v5
	v_add3_u32 v30, 0, v30, v32
	v_pack_b32_f16 v4, v4, v14
	v_pack_b32_f16 v14, v38, v46
	ds_store_2addr_b32 v19, v0, v6 offset0:112 offset1:172
	ds_store_2addr_b32 v5, v9, v17 offset1:60
	ds_store_2addr_b32 v5, v28, v7 offset0:120 offset1:180
	ds_store_2addr_b32 v39, v10, v33 offset0:112 offset1:172
	ds_store_2addr_b32 v30, v4, v14 offset1:60
	v_mul_u32_u24_e32 v4, 0x5a0, v76
	v_lshlrev_b32_e32 v5, 2, v77
	v_add_f16_e32 v90, v116, v15
	v_sub_f16_e32 v15, v116, v15
	v_add_f16_e32 v37, v34, v29
	v_sub_f16_e32 v29, v34, v29
	v_add_f16_e32 v34, v91, v18
	v_add_f16_e32 v54, v86, v42
	v_sub_f16_e32 v18, v91, v18
	v_sub_f16_e32 v42, v86, v42
	v_add3_u32 v4, 0, v4, v5
	v_add_nc_u32_e32 v35, 0x420, v20
	v_or_b32_e32 v51, 0x480, v20
	v_pack_b32_f16 v0, v31, v90
	v_pack_b32_f16 v6, v13, v8
	;; [unrolled: 1-line block ×4, first 2 shown]
	v_add_nc_u32_e32 v9, 0x200, v30
	v_pack_b32_f16 v3, v3, v37
	v_pack_b32_f16 v2, v2, v34
	;; [unrolled: 1-line block ×6, first 2 shown]
	v_add_nc_u32_e32 v12, 0x200, v4
	ds_store_2addr_b32 v30, v0, v6 offset0:120 offset1:180
	ds_store_2addr_b32 v9, v7, v8 offset0:112 offset1:172
	ds_store_2addr_b32 v4, v3, v2 offset1:60
	ds_store_2addr_b32 v4, v5, v1 offset0:120 offset1:180
	ds_store_2addr_b32 v12, v10, v11 offset0:112 offset1:172
	v_and_b32_e32 v4, 0xffff, v35
	v_and_b32_e32 v5, 0xffff, v51
	v_add_nc_u32_e32 v53, 0x4e0, v20
	v_add_nc_u32_e32 v8, 0x3c0, v20
	v_add_co_u32 v2, s0, s4, v24
	v_mul_u32_u24_e32 v4, 0x2d83, v4
	v_mul_u32_u24_e32 v5, 0x2d83, v5
	v_and_b32_e32 v6, 0xffff, v53
	s_wait_alu 0xf1ff
	v_add_co_ci_u32_e64 v3, s0, s5, v25, s0
	v_add_co_u32 v0, s0, s4, v26
	v_add_nc_u32_e32 v72, 0x540, v20
	v_lshrrev_b32_e32 v9, 22, v4
	v_lshrrev_b32_e32 v4, 22, v5
	v_and_b32_e32 v5, 0xffff, v8
	s_wait_alu 0xf1ff
	v_add_co_ci_u32_e64 v1, s0, s5, v27, s0
	v_mul_u32_u24_e32 v6, 0x2d83, v6
	v_add_nc_u32_e32 v11, 0xffffffb8, v20
	v_cmp_gt_u32_e64 s0, 0x48, v20
	v_and_b32_e32 v7, 0xffff, v72
	v_mul_lo_u16 v12, 0x168, v4
	v_mul_u32_u24_e32 v13, 0x2d83, v5
	v_lshrrev_b32_e32 v6, 22, v6
	s_wait_alu 0xf1ff
	v_cndmask_b32_e64 v4, v11, v71, s0
	v_mov_b32_e32 v5, v21
	v_mul_u32_u24_e32 v7, 0x2d83, v7
	v_sub_nc_u16 v11, v51, v12
	v_lshrrev_b32_e32 v12, 22, v13
	v_mul_lo_u16 v14, 0x168, v6
	v_lshlrev_b64_e32 v[5:6], 2, v[4:5]
	v_lshrrev_b32_e32 v7, 22, v7
	global_wb scope:SCOPE_SE
	s_wait_dscnt 0x0
	v_mul_lo_u16 v12, 0x168, v12
	s_barrier_signal -1
	s_barrier_wait -1
	v_add_co_u32 v5, s0, s4, v5
	v_mul_lo_u16 v7, 0x168, v7
	s_wait_alu 0xf1ff
	v_add_co_ci_u32_e64 v6, s0, s5, v6, s0
	v_sub_nc_u16 v8, v8, v12
	global_inv scope:SCOPE_SE
	v_mul_lo_u16 v10, 0x168, v9
	v_sub_nc_u16 v7, v72, v7
	s_clause 0x6
	global_load_b32 v38, v[5:6], off offset:1400
	global_load_b32 v39, v[0:1], off offset:2264
	;; [unrolled: 1-line block ×7, first 2 shown]
	v_and_b32_e32 v5, 0xffff, v8
	v_or_b32_e32 v6, 0x300, v20
	v_sub_nc_u16 v10, v35, v10
	v_and_b32_e32 v7, 0xffff, v7
	v_and_b32_e32 v11, 0xffff, v11
	v_lshlrev_b32_e32 v8, 2, v5
	v_add_nc_u32_e32 v5, 0x360, v20
	v_and_b32_e32 v10, 0xffff, v10
	v_lshlrev_b32_e32 v18, 2, v7
	v_add_nc_u32_e32 v50, 0x2a0, v20
	v_sub_nc_u16 v13, v53, v14
	v_and_b32_e32 v7, 0xffff, v5
	v_lshlrev_b32_e32 v12, 2, v10
	v_and_b32_e32 v10, 0xffff, v6
	v_lshlrev_b32_e32 v14, 2, v11
	v_and_b32_e32 v11, 0xffff, v50
	v_mul_u32_u24_e32 v7, 0x2d83, v7
	v_and_b32_e32 v13, 0xffff, v13
	v_mul_u32_u24_e32 v10, 0x2d83, v10
	v_cmp_lt_u32_e64 s0, 0x47, v20
	v_mul_u32_u24_e32 v11, 0x2d83, v11
	v_lshrrev_b32_e32 v7, 22, v7
	v_lshlrev_b32_e32 v16, 2, v13
	v_lshrrev_b32_e32 v10, 22, v10
	s_clause 0x4
	global_load_b32 v45, v18, s[4:5] offset:1400
	global_load_b32 v46, v16, s[4:5] offset:1400
	;; [unrolled: 1-line block ×5, first 2 shown]
	v_mul_lo_u16 v7, 0x168, v7
	v_lshrrev_b32_e32 v11, 22, v11
	v_mul_lo_u16 v10, 0x168, v10
	v_lshlrev_b32_e32 v4, 2, v4
	v_mul_u32_u24_e32 v13, 0xb40, v9
	v_sub_nc_u16 v5, v5, v7
	v_mul_lo_u16 v7, 0x168, v11
	v_sub_nc_u16 v6, v6, v10
	s_wait_alu 0xf1ff
	v_cndmask_b32_e64 v10, 0, 0xb40, s0
	v_mul_u32_u24_e32 v11, 0xb40, v11
	v_and_b32_e32 v5, 0xffff, v5
	v_sub_nc_u16 v7, v50, v7
	v_and_b32_e32 v6, 0xffff, v6
	v_add3_u32 v54, 0, v10, v4
	v_add_nc_u32_e32 v73, 0, v8
	v_lshlrev_b32_e32 v5, 2, v5
	v_and_b32_e32 v7, 0xffff, v7
	v_lshlrev_b32_e32 v6, 2, v6
	v_add3_u32 v74, 0, v13, v12
	v_add_nc_u32_e32 v76, 0, v16
	global_load_b32 v51, v5, s[4:5] offset:1400
	v_lshlrev_b32_e32 v7, 2, v7
	s_clause 0x1
	global_load_b32 v52, v6, s[4:5] offset:1400
	global_load_b32 v53, v7, s[4:5] offset:1400
	v_add3_u32 v55, 0, v11, v7
	v_add_nc_u32_e32 v71, 0, v6
	v_add_nc_u32_e32 v72, 0, v5
	ds_load_2addr_b32 v[4:5], v61 offset0:64 offset1:160
	ds_load_2addr_b32 v[6:7], v70 offset1:96
	ds_load_2addr_b32 v[8:9], v64 offset0:64 offset1:160
	ds_load_2addr_b32 v[10:11], v63 offset0:128 offset1:224
	;; [unrolled: 1-line block ×3, first 2 shown]
	ds_load_2addr_b32 v[16:17], v62 offset1:96
	v_add_nc_u32_e32 v75, 0, v14
	ds_load_2addr_b32 v[14:15], v65 offset0:64 offset1:160
	v_add_nc_u32_e32 v77, 0, v18
	ds_load_2addr_b32 v[18:19], v56 offset1:96
	ds_load_2addr_b32 v[24:25], v57 offset0:64 offset1:160
	ds_load_2addr_b32 v[26:27], v67 offset0:128 offset1:224
	;; [unrolled: 1-line block ×3, first 2 shown]
	ds_load_2addr_b32 v[30:31], v59 offset1:96
	ds_load_2addr_b32 v[32:33], v66 offset0:64 offset1:160
	ds_load_2addr_b32 v[34:35], v60 offset0:128 offset1:224
	;; [unrolled: 1-line block ×3, first 2 shown]
	global_wb scope:SCOPE_SE
	s_wait_loadcnt_dscnt 0x0
	s_barrier_signal -1
	s_barrier_wait -1
	global_inv scope:SCOPE_SE
	v_cmp_gt_u32_e64 s0, 48, v20
	v_pk_mul_f16 v83, v11, v39 op_sel:[0,1]
	v_pk_mul_f16 v80, v7, v40 op_sel:[0,1]
	v_pk_mul_f16 v82, v10, v41 op_sel:[0,1]
	v_pk_mul_f16 v79, v42, v6 op_sel:[0,1]
	v_pk_mul_f16 v81, v9, v43 op_sel:[0,1]
	v_pk_mul_f16 v78, v44, v5 op_sel:[0,1]
	s_delay_alu instid0(VALU_DEP_1)
	v_pk_fma_f16 v89, v44, v5, v78 op_sel:[0,0,1] op_sel_hi:[1,1,0] neg_lo:[0,0,1] neg_hi:[0,0,1]
	v_pk_fma_f16 v5, v44, v5, v78 op_sel:[0,0,1] op_sel_hi:[1,0,0]
	v_pk_fma_f16 v44, v42, v6, v79 op_sel:[0,0,1] op_sel_hi:[1,1,0] neg_lo:[0,0,1] neg_hi:[0,0,1]
	v_pk_fma_f16 v6, v42, v6, v79 op_sel:[0,0,1] op_sel_hi:[1,0,0]
	v_pk_fma_f16 v42, v7, v40, v80 op_sel:[0,0,1] op_sel_hi:[1,1,0] neg_lo:[0,0,1] neg_hi:[0,0,1]
	v_pk_fma_f16 v7, v7, v40, v80 op_sel:[0,0,1] op_sel_hi:[1,0,0]
	v_pk_fma_f16 v40, v9, v43, v81 op_sel:[0,0,1] op_sel_hi:[1,1,0] neg_lo:[0,0,1] neg_hi:[0,0,1]
	v_pk_fma_f16 v9, v9, v43, v81 op_sel:[0,0,1] op_sel_hi:[1,0,0]
	v_pk_fma_f16 v43, v10, v41, v82 op_sel:[0,0,1] op_sel_hi:[1,1,0] neg_lo:[0,0,1] neg_hi:[0,0,1]
	v_pk_fma_f16 v10, v10, v41, v82 op_sel:[0,0,1] op_sel_hi:[1,0,0]
	v_pk_fma_f16 v41, v11, v39, v83 op_sel:[0,0,1] op_sel_hi:[1,1,0] neg_lo:[0,0,1] neg_hi:[0,0,1]
	v_pk_fma_f16 v11, v11, v39, v83 op_sel:[0,0,1] op_sel_hi:[1,0,0]
	v_bfi_b32 v7, 0xffff, v42, v7
	v_bfi_b32 v6, 0xffff, v44, v6
	;; [unrolled: 1-line block ×6, first 2 shown]
	v_pk_mul_f16 v84, v13, v45 op_sel:[0,1]
	v_pk_add_f16 v6, v19, v6 neg_lo:[0,1] neg_hi:[0,1]
	v_pk_add_f16 v5, v18, v5 neg_lo:[0,1] neg_hi:[0,1]
	;; [unrolled: 1-line block ×3, first 2 shown]
	v_pk_mul_f16 v88, v17, v49 op_sel:[0,1]
	v_pk_fma_f16 v39, v13, v45, v84 op_sel:[0,0,1] op_sel_hi:[1,1,0] neg_lo:[0,0,1] neg_hi:[0,0,1]
	v_pk_fma_f16 v13, v13, v45, v84 op_sel:[0,0,1] op_sel_hi:[1,0,0]
	v_pk_add_f16 v9, v26, v9 neg_lo:[0,1] neg_hi:[0,1]
	v_pk_add_f16 v10, v27, v10 neg_lo:[0,1] neg_hi:[0,1]
	v_pk_fma_f16 v40, v17, v49, v88 op_sel:[0,0,1] op_sel_hi:[1,1,0] neg_lo:[0,0,1] neg_hi:[0,0,1]
	v_pk_fma_f16 v17, v17, v49, v88 op_sel:[0,0,1] op_sel_hi:[1,0,0]
	v_bfi_b32 v13, 0xffff, v39, v13
	v_pk_fma_f16 v18, v18, 2.0, v5 op_sel_hi:[1,0,1] neg_lo:[0,0,1] neg_hi:[0,0,1]
	v_pk_fma_f16 v19, v19, 2.0, v6 op_sel_hi:[1,0,1] neg_lo:[0,0,1] neg_hi:[0,0,1]
	v_pk_add_f16 v11, v28, v11 neg_lo:[0,1] neg_hi:[0,1]
	v_pk_fma_f16 v24, v24, 2.0, v7 op_sel_hi:[1,0,1] neg_lo:[0,0,1] neg_hi:[0,0,1]
	v_pk_add_f16 v13, v4, v13 neg_lo:[0,1] neg_hi:[0,1]
	v_pk_mul_f16 v85, v12, v46 op_sel:[0,1]
	v_pk_mul_f16 v86, v15, v47 op_sel:[0,1]
	v_pk_fma_f16 v26, v26, 2.0, v9 op_sel_hi:[1,0,1] neg_lo:[0,0,1] neg_hi:[0,0,1]
	v_pk_fma_f16 v27, v27, 2.0, v10 op_sel_hi:[1,0,1] neg_lo:[0,0,1] neg_hi:[0,0,1]
	;; [unrolled: 1-line block ×3, first 2 shown]
	ds_store_2addr_b32 v56, v18, v19 offset1:96
	ds_store_2addr_b32 v57, v24, v5 offset0:64 offset1:232
	v_add_nc_u32_e32 v5, 0xa00, v56
	v_pk_fma_f16 v28, v28, 2.0, v11 op_sel_hi:[1,0,1] neg_lo:[0,0,1] neg_hi:[0,0,1]
	v_pk_mul_f16 v4, v16, v51 op_sel:[0,1]
	v_pk_mul_f16 v87, v14, v48 op_sel:[0,1]
	v_pk_fma_f16 v45, v12, v46, v85 op_sel:[0,0,1] op_sel_hi:[1,1,0] neg_lo:[0,0,1] neg_hi:[0,0,1]
	v_pk_fma_f16 v12, v12, v46, v85 op_sel:[0,0,1] op_sel_hi:[1,0,0]
	v_pk_mul_f16 v41, v37, v52 op_sel:[0,1]
	v_pk_fma_f16 v42, v16, v51, v4 op_sel:[0,0,1] op_sel_hi:[1,1,0] neg_lo:[0,0,1] neg_hi:[0,0,1]
	v_pk_mul_f16 v43, v36, v53 op_sel:[0,1]
	v_pk_fma_f16 v4, v16, v51, v4 op_sel:[0,0,1] op_sel_hi:[1,0,0]
	v_pk_mul_f16 v16, v8, v38 op_sel:[0,1]
	v_pk_fma_f16 v44, v37, v52, v41 op_sel:[0,0,1] op_sel_hi:[1,1,0] neg_lo:[0,0,1] neg_hi:[0,0,1]
	v_pk_fma_f16 v37, v37, v52, v41 op_sel:[0,0,1] op_sel_hi:[1,0,0]
	v_pk_fma_f16 v41, v36, v53, v43 op_sel:[0,0,1] op_sel_hi:[1,1,0] neg_lo:[0,0,1] neg_hi:[0,0,1]
	v_pk_fma_f16 v36, v36, v53, v43 op_sel:[0,0,1] op_sel_hi:[1,0,0]
	;; [unrolled: 2-line block ×3, first 2 shown]
	v_bfi_b32 v4, 0xffff, v42, v4
	v_bfi_b32 v16, 0xffff, v40, v17
	;; [unrolled: 1-line block ×5, first 2 shown]
	v_pk_add_f16 v37, v31, v4 neg_lo:[0,1] neg_hi:[0,1]
	v_add_nc_u32_e32 v4, 0x600, v56
	v_pk_add_f16 v36, v29, v36 neg_lo:[0,1] neg_hi:[0,1]
	v_pk_fma_f16 v46, v15, v47, v86 op_sel:[0,0,1] op_sel_hi:[1,1,0] neg_lo:[0,0,1] neg_hi:[0,0,1]
	v_pk_add_f16 v8, v25, v8 neg_lo:[0,1] neg_hi:[0,1]
	v_pk_fma_f16 v15, v15, v47, v86 op_sel:[0,0,1] op_sel_hi:[1,0,0]
	ds_store_2addr_b32 v4, v6, v7 offset0:72 offset1:168
	v_add_nc_u32_e32 v4, 0x1200, v56
	v_pk_fma_f16 v29, v29, 2.0, v36 op_sel_hi:[1,0,1] neg_lo:[0,0,1] neg_hi:[0,0,1]
	v_pk_fma_f16 v25, v25, 2.0, v8 op_sel_hi:[1,0,1] neg_lo:[0,0,1] neg_hi:[0,0,1]
	ds_store_b32 v54, v25
	ds_store_b32 v54, v8 offset:1440
	ds_store_2addr_b32 v5, v26, v27 offset0:104 offset1:200
	ds_store_2addr_b32 v66, v28, v9 offset0:40 offset1:208
	;; [unrolled: 1-line block ×3, first 2 shown]
	ds_store_b32 v55, v29
	ds_store_b32 v55, v36 offset:1440
	v_subrev_nc_u32_e32 v5, 48, v20
	v_pk_fma_f16 v47, v14, v48, v87 op_sel:[0,0,1] op_sel_hi:[1,1,0] neg_lo:[0,0,1] neg_hi:[0,0,1]
	v_pk_fma_f16 v14, v14, v48, v87 op_sel:[0,0,1] op_sel_hi:[1,0,0]
	v_bfi_b32 v15, 0xffff, v46, v15
	v_mov_b32_e32 v6, v21
	s_wait_alu 0xf1ff
	v_cndmask_b32_e64 v5, v5, v50, s0
	v_bfi_b32 v12, 0xffff, v45, v12
	v_bfi_b32 v14, 0xffff, v47, v14
	v_pk_add_f16 v15, v34, v15 neg_lo:[0,1] neg_hi:[0,1]
	v_pk_add_f16 v17, v30, v17 neg_lo:[0,1] neg_hi:[0,1]
	v_lshlrev_b64_e32 v[6:7], 2, v[5:6]
	v_pk_add_f16 v12, v35, v12 neg_lo:[0,1] neg_hi:[0,1]
	v_pk_add_f16 v16, v32, v16 neg_lo:[0,1] neg_hi:[0,1]
	v_pk_add_f16 v14, v33, v14 neg_lo:[0,1] neg_hi:[0,1]
	v_pk_fma_f16 v34, v34, 2.0, v15 op_sel_hi:[1,0,1] neg_lo:[0,0,1] neg_hi:[0,0,1]
	v_pk_fma_f16 v30, v30, 2.0, v17 op_sel_hi:[1,0,1] neg_lo:[0,0,1] neg_hi:[0,0,1]
	;; [unrolled: 1-line block ×4, first 2 shown]
	v_add_co_u32 v6, s0, s4, v6
	v_pk_fma_f16 v32, v32, 2.0, v16 op_sel_hi:[1,0,1] neg_lo:[0,0,1] neg_hi:[0,0,1]
	s_wait_alu 0xf1ff
	v_add_co_ci_u32_e64 v7, s0, s5, v7, s0
	v_pk_fma_f16 v33, v33, 2.0, v14 op_sel_hi:[1,0,1] neg_lo:[0,0,1] neg_hi:[0,0,1]
	ds_store_b32 v71, v30 offset:5760
	ds_store_b32 v71, v17 offset:7200
	;; [unrolled: 1-line block ×6, first 2 shown]
	ds_store_b32 v74, v33
	ds_store_b32 v74, v14 offset:1440
	ds_store_b32 v75, v34 offset:8640
	ds_store_b32 v75, v15 offset:10080
	ds_store_b32 v76, v35 offset:8640
	ds_store_b32 v76, v12 offset:10080
	ds_store_b32 v77, v39 offset:8640
	ds_store_b32 v77, v13 offset:10080
	global_wb scope:SCOPE_SE
	s_wait_dscnt 0x0
	s_barrier_signal -1
	s_barrier_wait -1
	global_inv scope:SCOPE_SE
	s_clause 0xe
	global_load_b32 v19, v[0:1], off offset:3224
	global_load_b32 v40, v[0:1], off offset:3608
	global_load_b32 v41, v[0:1], off offset:4376
	global_load_b32 v42, v[0:1], off offset:4760
	global_load_b32 v43, v[0:1], off offset:5144
	global_load_b32 v44, v[0:1], off offset:3992
	global_load_b32 v45, v[6:7], off offset:2840
	global_load_b32 v46, v[0:1], off offset:4184
	global_load_b32 v47, v[0:1], off offset:3800
	global_load_b32 v48, v[0:1], off offset:3416
	global_load_b32 v49, v[0:1], off offset:3032
	global_load_b32 v50, v[0:1], off offset:5336
	global_load_b32 v51, v[0:1], off offset:4952
	global_load_b32 v52, v[0:1], off offset:4568
	global_load_b32 v53, v[2:3], off offset:2840
	v_cmp_lt_u32_e64 s0, 47, v20
	v_lshlrev_b32_e32 v8, 2, v5
	ds_load_2addr_b32 v[5:6], v56 offset1:96
	v_add_nc_u32_e32 v54, 0x1600, v56
	s_wait_alu 0xf1ff
	v_cndmask_b32_e64 v7, 0, 0x1680, s0
	s_delay_alu instid0(VALU_DEP_1)
	v_add3_u32 v55, 0, v7, v8
	ds_load_2addr_b32 v[7:8], v57 offset0:64 offset1:160
	ds_load_2addr_b32 v[9:10], v61 offset0:64 offset1:160
	;; [unrolled: 1-line block ×4, first 2 shown]
	ds_load_2addr_b32 v[15:16], v70 offset1:96
	ds_load_2addr_b32 v[17:18], v63 offset0:128 offset1:224
	ds_load_2addr_b32 v[24:25], v58 offset0:64 offset1:160
	;; [unrolled: 1-line block ×3, first 2 shown]
	ds_load_2addr_b32 v[28:29], v59 offset1:96
	ds_load_2addr_b32 v[30:31], v62 offset1:96
	ds_load_2addr_b32 v[32:33], v66 offset0:64 offset1:160
	ds_load_2addr_b32 v[34:35], v65 offset0:64 offset1:160
	;; [unrolled: 1-line block ×4, first 2 shown]
	global_wb scope:SCOPE_SE
	s_wait_loadcnt_dscnt 0x0
	s_barrier_signal -1
	s_barrier_wait -1
	global_inv scope:SCOPE_SE
	v_lshrrev_b32_e32 v73, 16, v7
	v_lshrrev_b32_e32 v100, 16, v10
	;; [unrolled: 1-line block ×45, first 2 shown]
	v_mul_f16_e32 v116, v101, v15
	v_mul_f16_e32 v101, v101, v86
	v_mul_f16_e64 v128, v113, v10
	v_mul_f16_e32 v113, v113, v100
	v_mul_f16_e32 v117, v102, v87
	;; [unrolled: 1-line block ×23, first 2 shown]
	v_mul_f16_e64 v129, v97, v114
	v_mul_f16_e32 v114, v38, v114
	v_mul_f16_e64 v130, v99, v115
	v_mul_f16_e32 v115, v39, v115
	v_fmac_f16_e32 v116, v19, v86
	v_fma_f16 v15, v19, v15, -v101
	v_fmac_f16_e64 v128, v53, v100
	v_fma_f16 v10, v53, v10, -v113
	v_fma_f16 v16, v40, v16, -v117
	v_fmac_f16_e32 v102, v40, v87
	v_fmac_f16_e32 v118, v75, v44
	v_fma_f16 v11, v11, v44, -v103
	v_fma_f16 v12, v12, v41, -v119
	v_fmac_f16_e32 v104, v77, v41
	v_fmac_f16_e32 v120, v79, v42
	;; [unrolled: 4-line block ×5, first 2 shown]
	v_fma_f16 v31, v34, v46, -v111
	v_fma_f16 v34, v35, v52, -v127
	v_fmac_f16_e32 v112, v95, v52
	v_fma_f16 v35, v38, v51, -v129
	v_fmac_f16_e32 v114, v97, v51
	;; [unrolled: 2-line block ×3, first 2 shown]
	v_sub_f16_e32 v10, v5, v10
	v_sub_f16_e64 v39, v71, v128
	v_sub_f16_e32 v15, v6, v15
	v_sub_f16_e32 v40, v72, v116
	v_sub_f16_e32 v16, v7, v16
	v_sub_f16_e32 v41, v73, v102
	v_sub_f16_e32 v11, v8, v11
	v_sub_f16_e32 v42, v74, v118
	v_sub_f16_e32 v12, v13, v12
	v_sub_f16_e32 v43, v76, v104
	v_sub_f16_e32 v17, v14, v17
	v_sub_f16_e32 v44, v78, v120
	v_sub_f16_e32 v18, v24, v18
	v_sub_f16_e32 v45, v80, v106
	v_sub_f16_e32 v19, v25, v19
	v_sub_f16_e32 v46, v82, v122
	v_sub_f16_e32 v26, v28, v26
	v_sub_f16_e32 v47, v84, v108
	v_sub_f16_e32 v27, v29, v27
	v_sub_f16_e32 v48, v88, v124
	v_sub_f16_e32 v30, v32, v30
	v_sub_f16_e32 v49, v90, v110
	v_sub_f16_e32 v31, v33, v31
	v_sub_f16_e32 v50, v92, v126
	v_sub_f16_e32 v34, v36, v34
	v_sub_f16_e32 v51, v94, v112
	v_sub_f16_e32 v35, v37, v35
	v_sub_f16_e32 v52, v96, v114
	v_sub_f16_e32 v38, v9, v38
	v_sub_f16_e32 v53, v98, v115
	v_fma_f16 v5, v5, 2.0, -v10
	v_fma_f16 v71, v71, 2.0, -v39
	;; [unrolled: 1-line block ×12, first 2 shown]
	v_pack_b32_f16 v11, v11, v42
	v_pack_b32_f16 v12, v12, v43
	v_fma_f16 v24, v24, 2.0, -v18
	v_fma_f16 v77, v80, 2.0, -v45
	;; [unrolled: 1-line block ×4, first 2 shown]
	v_pack_b32_f16 v17, v17, v44
	v_pack_b32_f16 v18, v18, v45
	v_fma_f16 v28, v28, 2.0, -v26
	v_fma_f16 v79, v84, 2.0, -v47
	;; [unrolled: 1-line block ×14, first 2 shown]
	v_pack_b32_f16 v15, v15, v40
	v_pack_b32_f16 v16, v16, v41
	;; [unrolled: 1-line block ×7, first 2 shown]
	ds_store_2addr_b32 v66, v11, v12 offset0:112 offset1:208
	v_pack_b32_f16 v11, v14, v76
	v_pack_b32_f16 v10, v10, v39
	v_pack_b32_f16 v12, v24, v77
	v_pack_b32_f16 v34, v34, v51
	v_pack_b32_f16 v35, v35, v52
	v_pack_b32_f16 v38, v38, v53
	ds_store_2addr_b32 v4, v17, v18 offset0:48 offset1:144
	v_pack_b32_f16 v4, v25, v78
	v_pack_b32_f16 v19, v19, v46
	v_pack_b32_f16 v26, v26, v47
	v_pack_b32_f16 v27, v27, v48
	v_pack_b32_f16 v30, v30, v49
	v_pack_b32_f16 v31, v31, v50
	;; [unrolled: 7-line block ×3, first 2 shown]
	v_pack_b32_f16 v9, v9, v85
	ds_store_2addr_b32 v56, v5, v6 offset1:96
	ds_store_2addr_b32 v57, v7, v8 offset0:64 offset1:160
	ds_store_2addr_b32 v67, v13, v11 offset0:128 offset1:224
	ds_store_2addr_b32 v58, v12, v10 offset0:64 offset1:208
	ds_store_b32 v55, v4
	ds_store_b32 v55, v19 offset:2880
	ds_store_2addr_b32 v54, v14, v15 offset0:80 offset1:176
	ds_store_2addr_b32 v62, v27, v30 offset1:96
	ds_store_2addr_b32 v70, v16, v17 offset0:144 offset1:240
	ds_store_2addr_b32 v65, v31, v34 offset0:64 offset1:160
	;; [unrolled: 1-line block ×5, first 2 shown]
	global_wb scope:SCOPE_SE
	s_wait_dscnt 0x0
	s_barrier_signal -1
	s_barrier_wait -1
	global_inv scope:SCOPE_SE
	s_clause 0xe
	global_load_b32 v34, v[0:1], off offset:6104
	global_load_b32 v35, v[0:1], off offset:6488
	global_load_b32 v36, v[0:1], off offset:6872
	global_load_b32 v37, v[0:1], off offset:7256
	global_load_b32 v38, v[0:1], off offset:7640
	global_load_b32 v39, v[0:1], off offset:8024
	global_load_b32 v40, v[0:1], off offset:8408
	global_load_b32 v41, v[2:3], off offset:5720
	global_load_b32 v42, v[0:1], off offset:8792
	global_load_b32 v43, v[0:1], off offset:9176
	global_load_b32 v44, v[0:1], off offset:9560
	global_load_b32 v45, v[0:1], off offset:9944
	global_load_b32 v46, v[0:1], off offset:10328
	global_load_b32 v47, v[0:1], off offset:10712
	global_load_b32 v48, v[0:1], off offset:11096
	ds_load_2addr_b32 v[0:1], v56 offset1:96
	ds_load_2addr_b32 v[2:3], v57 offset0:64 offset1:160
	ds_load_2addr_b32 v[4:5], v61 offset0:64 offset1:160
	;; [unrolled: 1-line block ×4, first 2 shown]
	ds_load_2addr_b32 v[10:11], v70 offset1:96
	ds_load_2addr_b32 v[12:13], v63 offset0:128 offset1:224
	ds_load_2addr_b32 v[14:15], v58 offset0:64 offset1:160
	;; [unrolled: 1-line block ×3, first 2 shown]
	ds_load_2addr_b32 v[18:19], v59 offset1:96
	ds_load_2addr_b32 v[24:25], v62 offset1:96
	ds_load_2addr_b32 v[26:27], v66 offset0:64 offset1:160
	ds_load_2addr_b32 v[28:29], v65 offset0:64 offset1:160
	ds_load_2addr_b32 v[30:31], v60 offset0:128 offset1:224
	ds_load_2addr_b32 v[32:33], v68 offset0:128 offset1:224
	global_wb scope:SCOPE_SE
	s_wait_loadcnt_dscnt 0x0
	s_barrier_signal -1
	s_barrier_wait -1
	global_inv scope:SCOPE_SE
	v_lshrrev_b32_e32 v49, 16, v0
	v_lshrrev_b32_e32 v50, 16, v1
	;; [unrolled: 1-line block ×45, first 2 shown]
	v_mul_f16_e32 v109, v94, v10
	v_mul_f16_e32 v94, v94, v86
	;; [unrolled: 1-line block ×30, first 2 shown]
	v_fmac_f16_e32 v109, v34, v86
	v_fma_f16 v10, v34, v10, -v94
	v_fmac_f16_e32 v101, v41, v93
	v_fma_f16 v5, v41, v5, -v119
	v_fma_f16 v11, v35, v11, -v110
	v_fmac_f16_e32 v95, v35, v87
	v_fmac_f16_e32 v111, v53, v36
	v_fma_f16 v6, v6, v36, -v96
	v_fma_f16 v7, v7, v37, -v112
	v_fmac_f16_e32 v97, v55, v37
	;; [unrolled: 4-line block ×5, first 2 shown]
	v_fma_f16 v28, v28, v45, -v120
	v_fmac_f16_e32 v105, v84, v45
	v_fma_f16 v29, v29, v46, -v121
	v_fmac_f16_e32 v106, v88, v46
	;; [unrolled: 2-line block ×4, first 2 shown]
	v_sub_f16_e32 v5, v0, v5
	v_sub_f16_e32 v34, v49, v101
	;; [unrolled: 1-line block ×30, first 2 shown]
	v_fma_f16 v0, v0, 2.0, -v5
	v_fma_f16 v49, v49, 2.0, -v34
	;; [unrolled: 1-line block ×12, first 2 shown]
	v_pack_b32_f16 v6, v6, v37
	v_pack_b32_f16 v7, v7, v38
	v_fma_f16 v14, v14, 2.0, -v13
	v_fma_f16 v55, v73, 2.0, -v40
	;; [unrolled: 1-line block ×18, first 2 shown]
	v_pack_b32_f16 v10, v10, v35
	v_pack_b32_f16 v11, v11, v36
	;; [unrolled: 1-line block ×17, first 2 shown]
	ds_store_2addr_b32 v64, v6, v7 offset0:64 offset1:160
	v_pack_b32_f16 v6, v9, v54
	v_pack_b32_f16 v7, v14, v55
	;; [unrolled: 1-line block ×4, first 2 shown]
	ds_store_2addr_b32 v70, v10, v11 offset1:96
	ds_store_2addr_b32 v63, v12, v13 offset0:128 offset1:224
	v_pack_b32_f16 v10, v18, v72
	ds_store_2addr_b32 v69, v16, v17 offset0:64 offset1:160
	v_pack_b32_f16 v11, v19, v73
	v_pack_b32_f16 v12, v26, v74
	ds_store_2addr_b32 v62, v24, v25 offset1:96
	v_pack_b32_f16 v13, v27, v75
	v_pack_b32_f16 v14, v30, v76
	ds_store_2addr_b32 v65, v28, v29 offset0:64 offset1:160
	v_pack_b32_f16 v15, v31, v77
	v_pack_b32_f16 v4, v4, v78
	ds_store_2addr_b32 v68, v32, v33 offset0:128 offset1:224
	ds_store_2addr_b32 v56, v0, v1 offset1:96
	ds_store_2addr_b32 v57, v2, v3 offset0:64 offset1:160
	ds_store_2addr_b32 v67, v8, v6 offset0:128 offset1:224
	ds_store_2addr_b32 v58, v7, v9 offset0:64 offset1:160
	ds_store_2addr_b32 v59, v10, v11 offset1:96
	ds_store_2addr_b32 v66, v12, v13 offset0:64 offset1:160
	ds_store_2addr_b32 v60, v14, v15 offset0:128 offset1:224
	;; [unrolled: 1-line block ×3, first 2 shown]
	global_wb scope:SCOPE_SE
	s_wait_dscnt 0x0
	s_barrier_signal -1
	s_barrier_wait -1
	global_inv scope:SCOPE_SE
	s_and_saveexec_b32 s0, vcc_lo
	s_cbranch_execz .LBB0_19
; %bb.18:
	v_dual_mov_b32 v5, v21 :: v_dual_add_nc_u32 v4, 0x60, v20
	v_lshl_add_u32 v28, v20, 2, 0
	v_lshlrev_b64_e32 v[2:3], 2, v[20:21]
	v_add_co_u32 v29, vcc_lo, s8, v22
	v_dual_mov_b32 v7, v21 :: v_dual_add_nc_u32 v6, 0xc0, v20
	s_wait_alu 0xfffd
	v_add_co_ci_u32_e32 v30, vcc_lo, s9, v23, vcc_lo
	v_lshlrev_b64_e32 v[4:5], 2, v[4:5]
	v_dual_mov_b32 v9, v21 :: v_dual_add_nc_u32 v10, 0x200, v28
	v_dual_mov_b32 v13, v21 :: v_dual_add_nc_u32 v8, 0x120, v20
	v_add_co_u32 v2, vcc_lo, v29, v2
	v_lshlrev_b64_e32 v[6:7], 2, v[6:7]
	v_dual_mov_b32 v17, v21 :: v_dual_add_nc_u32 v12, 0x180, v20
	s_wait_alu 0xfffd
	v_add_co_ci_u32_e32 v3, vcc_lo, v30, v3, vcc_lo
	v_dual_mov_b32 v19, v21 :: v_dual_add_nc_u32 v14, 0x400, v28
	ds_load_2addr_b32 v[0:1], v28 offset1:96
	v_add_co_u32 v4, vcc_lo, v29, v4
	v_lshlrev_b64_e32 v[8:9], 2, v[8:9]
	v_dual_mov_b32 v25, v21 :: v_dual_add_nc_u32 v16, 0x1e0, v20
	v_add_nc_u32_e32 v22, 0x800, v28
	s_wait_alu 0xfffd
	v_add_co_ci_u32_e32 v5, vcc_lo, v30, v5, vcc_lo
	ds_load_2addr_b32 v[10:11], v10 offset0:64 offset1:160
	v_add_co_u32 v6, vcc_lo, v29, v6
	v_lshlrev_b64_e32 v[12:13], 2, v[12:13]
	ds_load_2addr_b32 v[14:15], v14 offset0:128 offset1:224
	v_dual_mov_b32 v27, v21 :: v_dual_add_nc_u32 v18, 0x240, v20
	s_wait_alu 0xfffd
	v_add_co_ci_u32_e32 v7, vcc_lo, v30, v7, vcc_lo
	v_add_co_u32 v8, vcc_lo, v29, v8
	v_lshlrev_b64_e32 v[16:17], 2, v[16:17]
	ds_load_2addr_b32 v[22:23], v22 offset0:64 offset1:160
	v_add_nc_u32_e32 v24, 0x2a0, v20
	s_wait_alu 0xfffd
	v_add_co_ci_u32_e32 v9, vcc_lo, v30, v9, vcc_lo
	v_add_co_u32 v12, vcc_lo, v29, v12
	v_lshlrev_b64_e32 v[18:19], 2, v[18:19]
	s_wait_alu 0xfffd
	v_add_co_ci_u32_e32 v13, vcc_lo, v30, v13, vcc_lo
	v_add_co_u32 v16, vcc_lo, v29, v16
	v_lshlrev_b64_e32 v[24:25], 2, v[24:25]
	s_wait_alu 0xfffd
	v_add_co_ci_u32_e32 v17, vcc_lo, v30, v17, vcc_lo
	v_add_co_u32 v18, vcc_lo, v29, v18
	s_wait_alu 0xfffd
	v_add_co_ci_u32_e32 v19, vcc_lo, v30, v19, vcc_lo
	v_add_nc_u32_e32 v26, 0x300, v20
	v_add_co_u32 v24, vcc_lo, v29, v24
	s_wait_alu 0xfffd
	v_add_co_ci_u32_e32 v25, vcc_lo, v30, v25, vcc_lo
	s_wait_dscnt 0x3
	s_clause 0x1
	global_store_b32 v[2:3], v0, off
	global_store_b32 v[4:5], v1, off
	s_wait_dscnt 0x2
	s_clause 0x1
	global_store_b32 v[6:7], v10, off
	global_store_b32 v[8:9], v11, off
	;; [unrolled: 4-line block ×4, first 2 shown]
	v_dual_mov_b32 v9, v21 :: v_dual_add_nc_u32 v4, 0x360, v20
	v_mov_b32_e32 v13, v21
	v_mov_b32_e32 v5, v21
	v_lshlrev_b64_e32 v[2:3], 2, v[26:27]
	v_dual_mov_b32 v17, v21 :: v_dual_add_nc_u32 v6, 0x3c0, v20
	v_mov_b32_e32 v7, v21
	s_delay_alu instid0(VALU_DEP_4)
	v_lshlrev_b64_e32 v[4:5], 2, v[4:5]
	v_add_nc_u32_e32 v31, 0xc00, v28
	v_dual_mov_b32 v25, v21 :: v_dual_add_nc_u32 v8, 0x420, v20
	v_add_co_u32 v2, vcc_lo, v29, v2
	v_dual_mov_b32 v19, v21 :: v_dual_add_nc_u32 v10, 0xe00, v28
	v_lshlrev_b64_e32 v[6:7], 2, v[6:7]
	v_add_nc_u32_e32 v12, 0x480, v20
	s_wait_alu 0xfffd
	v_add_co_ci_u32_e32 v3, vcc_lo, v30, v3, vcc_lo
	v_add_nc_u32_e32 v14, 0x1000, v28
	ds_load_2addr_b32 v[0:1], v31 offset1:96
	v_add_co_u32 v4, vcc_lo, v29, v4
	v_lshlrev_b64_e32 v[8:9], 2, v[8:9]
	v_add_nc_u32_e32 v16, 0x4e0, v20
	v_add_nc_u32_e32 v22, 0x1400, v28
	s_wait_alu 0xfffd
	v_add_co_ci_u32_e32 v5, vcc_lo, v30, v5, vcc_lo
	ds_load_2addr_b32 v[10:11], v10 offset0:64 offset1:160
	v_add_co_u32 v6, vcc_lo, v29, v6
	v_lshlrev_b64_e32 v[12:13], 2, v[12:13]
	ds_load_2addr_b32 v[14:15], v14 offset0:128 offset1:224
	v_add_nc_u32_e32 v18, 0x540, v20
	s_wait_alu 0xfffd
	v_add_co_ci_u32_e32 v7, vcc_lo, v30, v7, vcc_lo
	v_add_co_u32 v8, vcc_lo, v29, v8
	v_lshlrev_b64_e32 v[16:17], 2, v[16:17]
	ds_load_2addr_b32 v[22:23], v22 offset0:64 offset1:160
	v_add_nc_u32_e32 v24, 0x5a0, v20
	s_wait_alu 0xfffd
	v_add_co_ci_u32_e32 v9, vcc_lo, v30, v9, vcc_lo
	v_add_co_u32 v12, vcc_lo, v29, v12
	v_lshlrev_b64_e32 v[18:19], 2, v[18:19]
	s_wait_alu 0xfffd
	v_add_co_ci_u32_e32 v13, vcc_lo, v30, v13, vcc_lo
	v_add_co_u32 v16, vcc_lo, v29, v16
	v_lshlrev_b64_e32 v[24:25], 2, v[24:25]
	s_wait_alu 0xfffd
	v_add_co_ci_u32_e32 v17, vcc_lo, v30, v17, vcc_lo
	v_add_co_u32 v18, vcc_lo, v29, v18
	s_wait_alu 0xfffd
	v_add_co_ci_u32_e32 v19, vcc_lo, v30, v19, vcc_lo
	v_add_nc_u32_e32 v26, 0x600, v20
	v_add_co_u32 v24, vcc_lo, v29, v24
	s_wait_alu 0xfffd
	v_add_co_ci_u32_e32 v25, vcc_lo, v30, v25, vcc_lo
	s_wait_dscnt 0x3
	s_clause 0x1
	global_store_b32 v[2:3], v0, off
	global_store_b32 v[4:5], v1, off
	s_wait_dscnt 0x2
	s_clause 0x1
	global_store_b32 v[6:7], v10, off
	global_store_b32 v[8:9], v11, off
	;; [unrolled: 4-line block ×4, first 2 shown]
	v_dual_mov_b32 v23, v21 :: v_dual_add_nc_u32 v4, 0x660, v20
	v_mov_b32_e32 v5, v21
	v_lshlrev_b64_e32 v[2:3], 2, v[26:27]
	v_dual_mov_b32 v7, v21 :: v_dual_add_nc_u32 v6, 0x6c0, v20
	v_add_nc_u32_e32 v31, 0x1800, v28
	s_delay_alu instid0(VALU_DEP_4)
	v_lshlrev_b64_e32 v[4:5], 2, v[4:5]
	v_dual_mov_b32 v9, v21 :: v_dual_add_nc_u32 v8, 0x720, v20
	v_add_co_u32 v2, vcc_lo, v29, v2
	v_add_nc_u32_e32 v10, 0x1a00, v28
	v_lshlrev_b64_e32 v[6:7], 2, v[6:7]
	v_dual_mov_b32 v13, v21 :: v_dual_add_nc_u32 v12, 0x780, v20
	s_wait_alu 0xfffd
	v_add_co_ci_u32_e32 v3, vcc_lo, v30, v3, vcc_lo
	v_add_nc_u32_e32 v14, 0x1c00, v28
	ds_load_2addr_b32 v[0:1], v31 offset1:96
	v_add_co_u32 v4, vcc_lo, v29, v4
	v_lshlrev_b64_e32 v[8:9], 2, v[8:9]
	v_dual_mov_b32 v17, v21 :: v_dual_add_nc_u32 v16, 0x7e0, v20
	v_add_nc_u32_e32 v24, 0x2000, v28
	s_wait_alu 0xfffd
	v_add_co_ci_u32_e32 v5, vcc_lo, v30, v5, vcc_lo
	ds_load_2addr_b32 v[10:11], v10 offset0:64 offset1:160
	v_add_co_u32 v6, vcc_lo, v29, v6
	v_lshlrev_b64_e32 v[12:13], 2, v[12:13]
	ds_load_2addr_b32 v[14:15], v14 offset0:128 offset1:224
	v_dual_mov_b32 v19, v21 :: v_dual_add_nc_u32 v18, 0x840, v20
	s_wait_alu 0xfffd
	v_add_co_ci_u32_e32 v7, vcc_lo, v30, v7, vcc_lo
	v_add_co_u32 v8, vcc_lo, v29, v8
	v_lshlrev_b64_e32 v[16:17], 2, v[16:17]
	ds_load_2addr_b32 v[24:25], v24 offset0:64 offset1:160
	v_add_nc_u32_e32 v22, 0x8a0, v20
	s_wait_alu 0xfffd
	v_add_co_ci_u32_e32 v9, vcc_lo, v30, v9, vcc_lo
	v_add_co_u32 v12, vcc_lo, v29, v12
	v_lshlrev_b64_e32 v[18:19], 2, v[18:19]
	s_wait_alu 0xfffd
	v_add_co_ci_u32_e32 v13, vcc_lo, v30, v13, vcc_lo
	v_add_co_u32 v16, vcc_lo, v29, v16
	v_lshlrev_b64_e32 v[22:23], 2, v[22:23]
	s_wait_alu 0xfffd
	v_add_co_ci_u32_e32 v17, vcc_lo, v30, v17, vcc_lo
	v_add_co_u32 v18, vcc_lo, v29, v18
	s_wait_alu 0xfffd
	v_add_co_ci_u32_e32 v19, vcc_lo, v30, v19, vcc_lo
	v_add_nc_u32_e32 v26, 0x900, v20
	v_add_co_u32 v22, vcc_lo, v29, v22
	s_wait_alu 0xfffd
	v_add_co_ci_u32_e32 v23, vcc_lo, v30, v23, vcc_lo
	v_add_nc_u32_e32 v31, 0x2400, v28
	s_wait_dscnt 0x3
	s_clause 0x1
	global_store_b32 v[2:3], v0, off
	global_store_b32 v[4:5], v1, off
	s_wait_dscnt 0x2
	s_clause 0x1
	global_store_b32 v[6:7], v10, off
	global_store_b32 v[8:9], v11, off
	;; [unrolled: 4-line block ×4, first 2 shown]
	v_dual_mov_b32 v9, v21 :: v_dual_add_nc_u32 v2, 0x960, v20
	v_mov_b32_e32 v3, v21
	v_lshlrev_b64_e32 v[26:27], 2, v[26:27]
	v_add_nc_u32_e32 v10, 0x2600, v28
	v_dual_mov_b32 v7, v21 :: v_dual_add_nc_u32 v6, 0x9c0, v20
	v_add_nc_u32_e32 v14, 0x2800, v28
	ds_load_2addr_b32 v[0:1], v31 offset1:96
	v_lshlrev_b64_e32 v[2:3], 2, v[2:3]
	v_add_nc_u32_e32 v8, 0xa20, v20
	ds_load_2addr_b32 v[10:11], v10 offset0:64 offset1:160
	v_add_co_u32 v4, vcc_lo, v29, v26
	v_lshlrev_b64_e32 v[6:7], 2, v[6:7]
	v_dual_mov_b32 v13, v21 :: v_dual_add_nc_u32 v12, 0xa80, v20
	ds_load_2addr_b32 v[14:15], v14 offset0:128 offset1:224
	s_wait_alu 0xfffd
	v_add_co_ci_u32_e32 v5, vcc_lo, v30, v27, vcc_lo
	v_add_co_u32 v2, vcc_lo, v29, v2
	v_lshlrev_b64_e32 v[8:9], 2, v[8:9]
	v_add_nc_u32_e32 v20, 0xae0, v20
	s_wait_alu 0xfffd
	v_add_co_ci_u32_e32 v3, vcc_lo, v30, v3, vcc_lo
	v_add_co_u32 v6, vcc_lo, v29, v6
	v_lshlrev_b64_e32 v[12:13], 2, v[12:13]
	s_wait_alu 0xfffd
	v_add_co_ci_u32_e32 v7, vcc_lo, v30, v7, vcc_lo
	v_add_co_u32 v8, vcc_lo, v29, v8
	v_lshlrev_b64_e32 v[16:17], 2, v[20:21]
	s_wait_alu 0xfffd
	v_add_co_ci_u32_e32 v9, vcc_lo, v30, v9, vcc_lo
	v_add_co_u32 v12, vcc_lo, v29, v12
	s_wait_alu 0xfffd
	v_add_co_ci_u32_e32 v13, vcc_lo, v30, v13, vcc_lo
	v_add_co_u32 v16, vcc_lo, v29, v16
	s_wait_alu 0xfffd
	v_add_co_ci_u32_e32 v17, vcc_lo, v30, v17, vcc_lo
	s_wait_dscnt 0x2
	s_clause 0x1
	global_store_b32 v[4:5], v0, off
	global_store_b32 v[2:3], v1, off
	s_wait_dscnt 0x1
	s_clause 0x1
	global_store_b32 v[6:7], v10, off
	global_store_b32 v[8:9], v11, off
	;; [unrolled: 4-line block ×3, first 2 shown]
.LBB0_19:
	s_nop 0
	s_sendmsg sendmsg(MSG_DEALLOC_VGPRS)
	s_endpgm
	.section	.rodata,"a",@progbits
	.p2align	6, 0x0
	.amdhsa_kernel fft_rtc_fwd_len2880_factors_10_6_6_2_2_2_wgs_96_tpt_96_halfLds_half_ip_CI_unitstride_sbrr_C2R_dirReg
		.amdhsa_group_segment_fixed_size 0
		.amdhsa_private_segment_fixed_size 0
		.amdhsa_kernarg_size 88
		.amdhsa_user_sgpr_count 2
		.amdhsa_user_sgpr_dispatch_ptr 0
		.amdhsa_user_sgpr_queue_ptr 0
		.amdhsa_user_sgpr_kernarg_segment_ptr 1
		.amdhsa_user_sgpr_dispatch_id 0
		.amdhsa_user_sgpr_private_segment_size 0
		.amdhsa_wavefront_size32 1
		.amdhsa_uses_dynamic_stack 0
		.amdhsa_enable_private_segment 0
		.amdhsa_system_sgpr_workgroup_id_x 1
		.amdhsa_system_sgpr_workgroup_id_y 0
		.amdhsa_system_sgpr_workgroup_id_z 0
		.amdhsa_system_sgpr_workgroup_info 0
		.amdhsa_system_vgpr_workitem_id 0
		.amdhsa_next_free_vgpr 148
		.amdhsa_next_free_sgpr 32
		.amdhsa_reserve_vcc 1
		.amdhsa_float_round_mode_32 0
		.amdhsa_float_round_mode_16_64 0
		.amdhsa_float_denorm_mode_32 3
		.amdhsa_float_denorm_mode_16_64 3
		.amdhsa_fp16_overflow 0
		.amdhsa_workgroup_processor_mode 1
		.amdhsa_memory_ordered 1
		.amdhsa_forward_progress 0
		.amdhsa_round_robin_scheduling 0
		.amdhsa_exception_fp_ieee_invalid_op 0
		.amdhsa_exception_fp_denorm_src 0
		.amdhsa_exception_fp_ieee_div_zero 0
		.amdhsa_exception_fp_ieee_overflow 0
		.amdhsa_exception_fp_ieee_underflow 0
		.amdhsa_exception_fp_ieee_inexact 0
		.amdhsa_exception_int_div_zero 0
	.end_amdhsa_kernel
	.text
.Lfunc_end0:
	.size	fft_rtc_fwd_len2880_factors_10_6_6_2_2_2_wgs_96_tpt_96_halfLds_half_ip_CI_unitstride_sbrr_C2R_dirReg, .Lfunc_end0-fft_rtc_fwd_len2880_factors_10_6_6_2_2_2_wgs_96_tpt_96_halfLds_half_ip_CI_unitstride_sbrr_C2R_dirReg
                                        ; -- End function
	.section	.AMDGPU.csdata,"",@progbits
; Kernel info:
; codeLenInByte = 22480
; NumSgprs: 34
; NumVgprs: 148
; ScratchSize: 0
; MemoryBound: 0
; FloatMode: 240
; IeeeMode: 1
; LDSByteSize: 0 bytes/workgroup (compile time only)
; SGPRBlocks: 4
; VGPRBlocks: 18
; NumSGPRsForWavesPerEU: 34
; NumVGPRsForWavesPerEU: 148
; Occupancy: 9
; WaveLimiterHint : 1
; COMPUTE_PGM_RSRC2:SCRATCH_EN: 0
; COMPUTE_PGM_RSRC2:USER_SGPR: 2
; COMPUTE_PGM_RSRC2:TRAP_HANDLER: 0
; COMPUTE_PGM_RSRC2:TGID_X_EN: 1
; COMPUTE_PGM_RSRC2:TGID_Y_EN: 0
; COMPUTE_PGM_RSRC2:TGID_Z_EN: 0
; COMPUTE_PGM_RSRC2:TIDIG_COMP_CNT: 0
	.text
	.p2alignl 7, 3214868480
	.fill 96, 4, 3214868480
	.type	__hip_cuid_4806e4728d739d3c,@object ; @__hip_cuid_4806e4728d739d3c
	.section	.bss,"aw",@nobits
	.globl	__hip_cuid_4806e4728d739d3c
__hip_cuid_4806e4728d739d3c:
	.byte	0                               ; 0x0
	.size	__hip_cuid_4806e4728d739d3c, 1

	.ident	"AMD clang version 19.0.0git (https://github.com/RadeonOpenCompute/llvm-project roc-6.4.0 25133 c7fe45cf4b819c5991fe208aaa96edf142730f1d)"
	.section	".note.GNU-stack","",@progbits
	.addrsig
	.addrsig_sym __hip_cuid_4806e4728d739d3c
	.amdgpu_metadata
---
amdhsa.kernels:
  - .args:
      - .actual_access:  read_only
        .address_space:  global
        .offset:         0
        .size:           8
        .value_kind:     global_buffer
      - .offset:         8
        .size:           8
        .value_kind:     by_value
      - .actual_access:  read_only
        .address_space:  global
        .offset:         16
        .size:           8
        .value_kind:     global_buffer
      - .actual_access:  read_only
        .address_space:  global
        .offset:         24
        .size:           8
        .value_kind:     global_buffer
      - .offset:         32
        .size:           8
        .value_kind:     by_value
      - .actual_access:  read_only
        .address_space:  global
        .offset:         40
        .size:           8
        .value_kind:     global_buffer
      - .actual_access:  read_only
        .address_space:  global
        .offset:         48
        .size:           8
        .value_kind:     global_buffer
      - .offset:         56
        .size:           4
        .value_kind:     by_value
      - .actual_access:  read_only
        .address_space:  global
        .offset:         64
        .size:           8
        .value_kind:     global_buffer
      - .actual_access:  read_only
        .address_space:  global
        .offset:         72
        .size:           8
        .value_kind:     global_buffer
      - .address_space:  global
        .offset:         80
        .size:           8
        .value_kind:     global_buffer
    .group_segment_fixed_size: 0
    .kernarg_segment_align: 8
    .kernarg_segment_size: 88
    .language:       OpenCL C
    .language_version:
      - 2
      - 0
    .max_flat_workgroup_size: 96
    .name:           fft_rtc_fwd_len2880_factors_10_6_6_2_2_2_wgs_96_tpt_96_halfLds_half_ip_CI_unitstride_sbrr_C2R_dirReg
    .private_segment_fixed_size: 0
    .sgpr_count:     34
    .sgpr_spill_count: 0
    .symbol:         fft_rtc_fwd_len2880_factors_10_6_6_2_2_2_wgs_96_tpt_96_halfLds_half_ip_CI_unitstride_sbrr_C2R_dirReg.kd
    .uniform_work_group_size: 1
    .uses_dynamic_stack: false
    .vgpr_count:     148
    .vgpr_spill_count: 0
    .wavefront_size: 32
    .workgroup_processor_mode: 1
amdhsa.target:   amdgcn-amd-amdhsa--gfx1201
amdhsa.version:
  - 1
  - 2
...

	.end_amdgpu_metadata
